;; amdgpu-corpus repo=ROCm/rocFFT kind=compiled arch=gfx906 opt=O3
	.text
	.amdgcn_target "amdgcn-amd-amdhsa--gfx906"
	.amdhsa_code_object_version 6
	.protected	fft_rtc_fwd_len1690_factors_13_10_13_wgs_169_tpt_169_dp_op_CI_CI_unitstride_sbrr_C2R_dirReg ; -- Begin function fft_rtc_fwd_len1690_factors_13_10_13_wgs_169_tpt_169_dp_op_CI_CI_unitstride_sbrr_C2R_dirReg
	.globl	fft_rtc_fwd_len1690_factors_13_10_13_wgs_169_tpt_169_dp_op_CI_CI_unitstride_sbrr_C2R_dirReg
	.p2align	8
	.type	fft_rtc_fwd_len1690_factors_13_10_13_wgs_169_tpt_169_dp_op_CI_CI_unitstride_sbrr_C2R_dirReg,@function
fft_rtc_fwd_len1690_factors_13_10_13_wgs_169_tpt_169_dp_op_CI_CI_unitstride_sbrr_C2R_dirReg: ; @fft_rtc_fwd_len1690_factors_13_10_13_wgs_169_tpt_169_dp_op_CI_CI_unitstride_sbrr_C2R_dirReg
; %bb.0:
	s_load_dwordx4 s[8:11], s[4:5], 0x58
	s_load_dwordx4 s[12:15], s[4:5], 0x0
	;; [unrolled: 1-line block ×3, first 2 shown]
	s_mov_b64 s[50:51], s[2:3]
	s_mov_b64 s[48:49], s[0:1]
	v_mul_u32_u24_e32 v1, 0x184, v0
	s_waitcnt lgkmcnt(0)
	v_cmp_lt_u64_e64 s[0:1], s[14:15], 2
	s_add_u32 s48, s48, s7
	v_add_u32_sdwa v5, s6, v1 dst_sel:DWORD dst_unused:UNUSED_PAD src0_sel:DWORD src1_sel:WORD_1
	v_mov_b32_e32 v3, 0
	v_mov_b32_e32 v1, 0
	s_addc_u32 s49, s49, 0
	v_mov_b32_e32 v6, v3
	s_and_b64 vcc, exec, s[0:1]
	v_mov_b32_e32 v2, 0
	s_cbranch_vccnz .LBB0_8
; %bb.1:
	s_load_dwordx2 s[0:1], s[4:5], 0x10
	s_add_u32 s2, s18, 8
	s_addc_u32 s3, s19, 0
	s_add_u32 s6, s16, 8
	v_mov_b32_e32 v1, 0
	s_addc_u32 s7, s17, 0
	v_mov_b32_e32 v2, 0
	s_waitcnt lgkmcnt(0)
	s_add_u32 s20, s0, 8
	v_mov_b32_e32 v69, v2
	s_addc_u32 s21, s1, 0
	s_mov_b64 s[22:23], 1
	v_mov_b32_e32 v68, v1
.LBB0_2:                                ; =>This Inner Loop Header: Depth=1
	s_load_dwordx2 s[24:25], s[20:21], 0x0
                                        ; implicit-def: $vgpr70_vgpr71
	s_waitcnt lgkmcnt(0)
	v_or_b32_e32 v4, s25, v6
	v_cmp_ne_u64_e32 vcc, 0, v[3:4]
	s_and_saveexec_b64 s[0:1], vcc
	s_xor_b64 s[26:27], exec, s[0:1]
	s_cbranch_execz .LBB0_4
; %bb.3:                                ;   in Loop: Header=BB0_2 Depth=1
	v_cvt_f32_u32_e32 v4, s24
	v_cvt_f32_u32_e32 v7, s25
	s_sub_u32 s0, 0, s24
	s_subb_u32 s1, 0, s25
	v_mac_f32_e32 v4, 0x4f800000, v7
	v_rcp_f32_e32 v4, v4
	v_mul_f32_e32 v4, 0x5f7ffffc, v4
	v_mul_f32_e32 v7, 0x2f800000, v4
	v_trunc_f32_e32 v7, v7
	v_mac_f32_e32 v4, 0xcf800000, v7
	v_cvt_u32_f32_e32 v7, v7
	v_cvt_u32_f32_e32 v4, v4
	v_mul_lo_u32 v8, s0, v7
	v_mul_hi_u32 v9, s0, v4
	v_mul_lo_u32 v11, s1, v4
	v_mul_lo_u32 v10, s0, v4
	v_add_u32_e32 v8, v9, v8
	v_add_u32_e32 v8, v8, v11
	v_mul_hi_u32 v9, v4, v10
	v_mul_lo_u32 v11, v4, v8
	v_mul_hi_u32 v13, v4, v8
	v_mul_hi_u32 v12, v7, v10
	v_mul_lo_u32 v10, v7, v10
	v_mul_hi_u32 v14, v7, v8
	v_add_co_u32_e32 v9, vcc, v9, v11
	v_addc_co_u32_e32 v11, vcc, 0, v13, vcc
	v_mul_lo_u32 v8, v7, v8
	v_add_co_u32_e32 v9, vcc, v9, v10
	v_addc_co_u32_e32 v9, vcc, v11, v12, vcc
	v_addc_co_u32_e32 v10, vcc, 0, v14, vcc
	v_add_co_u32_e32 v8, vcc, v9, v8
	v_addc_co_u32_e32 v9, vcc, 0, v10, vcc
	v_add_co_u32_e32 v4, vcc, v4, v8
	v_addc_co_u32_e32 v7, vcc, v7, v9, vcc
	v_mul_lo_u32 v8, s0, v7
	v_mul_hi_u32 v9, s0, v4
	v_mul_lo_u32 v10, s1, v4
	v_mul_lo_u32 v11, s0, v4
	v_add_u32_e32 v8, v9, v8
	v_add_u32_e32 v8, v8, v10
	v_mul_lo_u32 v12, v4, v8
	v_mul_hi_u32 v13, v4, v11
	v_mul_hi_u32 v14, v4, v8
	;; [unrolled: 1-line block ×3, first 2 shown]
	v_mul_lo_u32 v11, v7, v11
	v_mul_hi_u32 v9, v7, v8
	v_add_co_u32_e32 v12, vcc, v13, v12
	v_addc_co_u32_e32 v13, vcc, 0, v14, vcc
	v_mul_lo_u32 v8, v7, v8
	v_add_co_u32_e32 v11, vcc, v12, v11
	v_addc_co_u32_e32 v10, vcc, v13, v10, vcc
	v_addc_co_u32_e32 v9, vcc, 0, v9, vcc
	v_add_co_u32_e32 v8, vcc, v10, v8
	v_addc_co_u32_e32 v9, vcc, 0, v9, vcc
	v_add_co_u32_e32 v4, vcc, v4, v8
	v_addc_co_u32_e32 v9, vcc, v7, v9, vcc
	v_mad_u64_u32 v[7:8], s[0:1], v5, v9, 0
	v_mul_hi_u32 v10, v5, v4
	v_add_co_u32_e32 v11, vcc, v10, v7
	v_addc_co_u32_e32 v12, vcc, 0, v8, vcc
	v_mad_u64_u32 v[7:8], s[0:1], v6, v4, 0
	v_mad_u64_u32 v[9:10], s[0:1], v6, v9, 0
	v_add_co_u32_e32 v4, vcc, v11, v7
	v_addc_co_u32_e32 v4, vcc, v12, v8, vcc
	v_addc_co_u32_e32 v7, vcc, 0, v10, vcc
	v_add_co_u32_e32 v4, vcc, v4, v9
	v_addc_co_u32_e32 v9, vcc, 0, v7, vcc
	v_mul_lo_u32 v10, s25, v4
	v_mul_lo_u32 v11, s24, v9
	v_mad_u64_u32 v[7:8], s[0:1], s24, v4, 0
	v_add3_u32 v8, v8, v11, v10
	v_sub_u32_e32 v10, v6, v8
	v_mov_b32_e32 v11, s25
	v_sub_co_u32_e32 v7, vcc, v5, v7
	v_subb_co_u32_e64 v10, s[0:1], v10, v11, vcc
	v_subrev_co_u32_e64 v11, s[0:1], s24, v7
	v_subbrev_co_u32_e64 v10, s[0:1], 0, v10, s[0:1]
	v_cmp_le_u32_e64 s[0:1], s25, v10
	v_cndmask_b32_e64 v12, 0, -1, s[0:1]
	v_cmp_le_u32_e64 s[0:1], s24, v11
	v_cndmask_b32_e64 v11, 0, -1, s[0:1]
	v_cmp_eq_u32_e64 s[0:1], s25, v10
	v_cndmask_b32_e64 v10, v12, v11, s[0:1]
	v_add_co_u32_e64 v11, s[0:1], 2, v4
	v_addc_co_u32_e64 v12, s[0:1], 0, v9, s[0:1]
	v_add_co_u32_e64 v13, s[0:1], 1, v4
	v_addc_co_u32_e64 v14, s[0:1], 0, v9, s[0:1]
	v_subb_co_u32_e32 v8, vcc, v6, v8, vcc
	v_cmp_ne_u32_e64 s[0:1], 0, v10
	v_cmp_le_u32_e32 vcc, s25, v8
	v_cndmask_b32_e64 v10, v14, v12, s[0:1]
	v_cndmask_b32_e64 v12, 0, -1, vcc
	v_cmp_le_u32_e32 vcc, s24, v7
	v_cndmask_b32_e64 v7, 0, -1, vcc
	v_cmp_eq_u32_e32 vcc, s25, v8
	v_cndmask_b32_e32 v7, v12, v7, vcc
	v_cmp_ne_u32_e32 vcc, 0, v7
	v_cndmask_b32_e64 v7, v13, v11, s[0:1]
	v_cndmask_b32_e32 v71, v9, v10, vcc
	v_cndmask_b32_e32 v70, v4, v7, vcc
.LBB0_4:                                ;   in Loop: Header=BB0_2 Depth=1
	s_andn2_saveexec_b64 s[0:1], s[26:27]
	s_cbranch_execz .LBB0_6
; %bb.5:                                ;   in Loop: Header=BB0_2 Depth=1
	v_cvt_f32_u32_e32 v4, s24
	s_sub_i32 s26, 0, s24
	v_mov_b32_e32 v71, v3
	v_rcp_iflag_f32_e32 v4, v4
	v_mul_f32_e32 v4, 0x4f7ffffe, v4
	v_cvt_u32_f32_e32 v4, v4
	v_mul_lo_u32 v7, s26, v4
	v_mul_hi_u32 v7, v4, v7
	v_add_u32_e32 v4, v4, v7
	v_mul_hi_u32 v4, v5, v4
	v_mul_lo_u32 v7, v4, s24
	v_add_u32_e32 v8, 1, v4
	v_sub_u32_e32 v7, v5, v7
	v_subrev_u32_e32 v9, s24, v7
	v_cmp_le_u32_e32 vcc, s24, v7
	v_cndmask_b32_e32 v7, v7, v9, vcc
	v_cndmask_b32_e32 v4, v4, v8, vcc
	v_add_u32_e32 v8, 1, v4
	v_cmp_le_u32_e32 vcc, s24, v7
	v_cndmask_b32_e32 v70, v4, v8, vcc
.LBB0_6:                                ;   in Loop: Header=BB0_2 Depth=1
	s_or_b64 exec, exec, s[0:1]
	v_mul_lo_u32 v4, v71, s24
	v_mul_lo_u32 v9, v70, s25
	v_mad_u64_u32 v[7:8], s[0:1], v70, s24, 0
	s_load_dwordx2 s[0:1], s[6:7], 0x0
	s_load_dwordx2 s[24:25], s[2:3], 0x0
	v_add3_u32 v4, v8, v9, v4
	v_sub_co_u32_e32 v5, vcc, v5, v7
	v_subb_co_u32_e32 v4, vcc, v6, v4, vcc
	s_waitcnt lgkmcnt(0)
	v_mul_lo_u32 v6, s0, v4
	v_mul_lo_u32 v7, s1, v5
	v_mad_u64_u32 v[1:2], s[0:1], s0, v5, v[1:2]
	v_mul_lo_u32 v4, s24, v4
	v_mul_lo_u32 v8, s25, v5
	v_mad_u64_u32 v[68:69], s[0:1], s24, v5, v[68:69]
	s_add_u32 s22, s22, 1
	s_addc_u32 s23, s23, 0
	s_add_u32 s2, s2, 8
	v_add3_u32 v69, v8, v69, v4
	s_addc_u32 s3, s3, 0
	v_mov_b32_e32 v4, s14
	s_add_u32 s6, s6, 8
	v_mov_b32_e32 v5, s15
	s_addc_u32 s7, s7, 0
	v_cmp_ge_u64_e32 vcc, s[22:23], v[4:5]
	s_add_u32 s20, s20, 8
	v_add3_u32 v2, v7, v2, v6
	s_addc_u32 s21, s21, 0
	s_cbranch_vccnz .LBB0_9
; %bb.7:                                ;   in Loop: Header=BB0_2 Depth=1
	v_mov_b32_e32 v5, v70
	v_mov_b32_e32 v6, v71
	s_branch .LBB0_2
.LBB0_8:
	v_mov_b32_e32 v69, v2
	v_mov_b32_e32 v71, v6
	;; [unrolled: 1-line block ×4, first 2 shown]
.LBB0_9:
	s_load_dwordx2 s[4:5], s[4:5], 0x28
	s_lshl_b64 s[6:7], s[14:15], 3
	s_add_u32 s2, s18, s6
	s_addc_u32 s3, s19, s7
                                        ; implicit-def: $vgpr72
	s_waitcnt lgkmcnt(0)
	v_cmp_gt_u64_e64 s[0:1], s[4:5], v[70:71]
	v_cmp_le_u64_e32 vcc, s[4:5], v[70:71]
	s_and_saveexec_b64 s[4:5], vcc
	s_xor_b64 s[4:5], exec, s[4:5]
; %bb.10:
	s_mov_b32 s14, 0x183c978
	v_mul_hi_u32 v1, v0, s14
	v_mul_u32_u24_e32 v1, 0xa9, v1
	v_sub_u32_e32 v72, v0, v1
                                        ; implicit-def: $vgpr0
                                        ; implicit-def: $vgpr1_vgpr2
; %bb.11:
	s_or_saveexec_b64 s[4:5], s[4:5]
	s_load_dwordx2 s[2:3], s[2:3], 0x0
	s_xor_b64 exec, exec, s[4:5]
	s_cbranch_execz .LBB0_15
; %bb.12:
	s_add_u32 s6, s16, s6
	s_addc_u32 s7, s17, s7
	s_load_dwordx2 s[6:7], s[6:7], 0x0
	s_mov_b32 s14, 0x183c978
	v_mul_hi_u32 v5, v0, s14
	v_lshlrev_b64 v[1:2], 4, v[1:2]
	s_waitcnt lgkmcnt(0)
	v_mul_lo_u32 v6, s7, v70
	v_mul_lo_u32 v7, s6, v71
	v_mad_u64_u32 v[3:4], s[6:7], s6, v70, 0
	v_mul_u32_u24_e32 v5, 0xa9, v5
	v_sub_u32_e32 v72, v0, v5
	v_add3_u32 v4, v4, v7, v6
	v_lshlrev_b64 v[3:4], 4, v[3:4]
	v_mov_b32_e32 v0, s9
	v_add_co_u32_e32 v3, vcc, s8, v3
	v_addc_co_u32_e32 v0, vcc, v0, v4, vcc
	v_add_co_u32_e32 v1, vcc, v3, v1
	v_addc_co_u32_e32 v0, vcc, v0, v2, vcc
	v_lshlrev_b32_e32 v44, 4, v72
	v_add_co_u32_e32 v33, vcc, v1, v44
	v_addc_co_u32_e32 v34, vcc, 0, v0, vcc
	s_movk_i32 s6, 0x1000
	v_add_co_u32_e32 v18, vcc, s6, v33
	v_addc_co_u32_e32 v19, vcc, 0, v34, vcc
	s_movk_i32 s6, 0x2000
	;; [unrolled: 3-line block ×4, first 2 shown]
	v_add_co_u32_e32 v37, vcc, s6, v33
	v_addc_co_u32_e32 v38, vcc, 0, v34, vcc
	v_add_co_u32_e32 v42, vcc, 0x5000, v33
	v_addc_co_u32_e32 v43, vcc, 0, v34, vcc
	global_load_dwordx4 v[2:5], v[33:34], off
	global_load_dwordx4 v[6:9], v[33:34], off offset:2704
	global_load_dwordx4 v[10:13], v[18:19], off offset:1312
	;; [unrolled: 1-line block ×3, first 2 shown]
	s_nop 0
	global_load_dwordx4 v[18:21], v[26:27], off offset:2624
	global_load_dwordx4 v[22:25], v[35:36], off offset:1232
	s_nop 0
	global_load_dwordx4 v[26:29], v[35:36], off offset:3936
	global_load_dwordx4 v[30:33], v[37:38], off offset:2544
	;; [unrolled: 3-line block ×3, first 2 shown]
	s_movk_i32 s6, 0xa8
	v_add_u32_e32 v42, 0, v44
	v_cmp_eq_u32_e32 vcc, s6, v72
	s_waitcnt vmcnt(9)
	ds_write_b128 v42, v[2:5]
	s_waitcnt vmcnt(8)
	ds_write_b128 v42, v[6:9] offset:2704
	s_waitcnt vmcnt(7)
	ds_write_b128 v42, v[10:13] offset:5408
	;; [unrolled: 2-line block ×9, first 2 shown]
	s_and_saveexec_b64 s[6:7], vcc
	s_cbranch_execz .LBB0_14
; %bb.13:
	v_add_co_u32_e32 v1, vcc, 0x6000, v1
	v_addc_co_u32_e32 v2, vcc, 0, v0, vcc
	global_load_dwordx4 v[0:3], v[1:2], off offset:2464
	v_mov_b32_e32 v4, 0
	v_mov_b32_e32 v72, 0xa8
	s_waitcnt vmcnt(0)
	ds_write_b128 v4, v[0:3] offset:27040
.LBB0_14:
	s_or_b64 exec, exec, s[6:7]
.LBB0_15:
	s_or_b64 exec, exec, s[4:5]
	v_lshlrev_b32_e32 v0, 4, v72
	v_add_u32_e32 v207, 0, v0
	s_waitcnt lgkmcnt(0)
	s_barrier
	v_sub_u32_e32 v10, 0, v0
	ds_read_b64 v[6:7], v207
	ds_read_b64 v[8:9], v10 offset:27040
	s_add_u32 s6, s12, 0x68d0
	s_addc_u32 s7, s13, 0
	v_cmp_ne_u32_e32 vcc, 0, v72
                                        ; implicit-def: $vgpr4_vgpr5
	s_waitcnt lgkmcnt(0)
	v_add_f64 v[0:1], v[6:7], v[8:9]
	v_add_f64 v[2:3], v[6:7], -v[8:9]
	s_and_saveexec_b64 s[4:5], vcc
	s_xor_b64 s[4:5], exec, s[4:5]
	s_cbranch_execz .LBB0_17
; %bb.16:
	v_mov_b32_e32 v73, 0
	v_lshlrev_b64 v[0:1], 4, v[72:73]
	v_mov_b32_e32 v2, s7
	v_add_co_u32_e32 v0, vcc, s6, v0
	v_addc_co_u32_e32 v1, vcc, v2, v1, vcc
	global_load_dwordx4 v[2:5], v[0:1], off
	ds_read_b64 v[0:1], v10 offset:27048
	ds_read_b64 v[11:12], v207 offset:8
	v_add_f64 v[13:14], v[6:7], v[8:9]
	v_add_f64 v[8:9], v[6:7], -v[8:9]
	s_waitcnt lgkmcnt(0)
	v_add_f64 v[15:16], v[0:1], v[11:12]
	v_add_f64 v[0:1], v[11:12], -v[0:1]
	s_waitcnt vmcnt(0)
	v_fma_f64 v[6:7], -v[8:9], v[4:5], v[13:14]
	v_fma_f64 v[11:12], v[15:16], v[4:5], -v[0:1]
	v_fma_f64 v[13:14], v[8:9], v[4:5], v[13:14]
	v_fma_f64 v[17:18], v[15:16], v[4:5], v[0:1]
	;; [unrolled: 1-line block ×4, first 2 shown]
	v_fma_f64 v[0:1], -v[15:16], v[2:3], v[13:14]
	v_fma_f64 v[2:3], v[8:9], v[2:3], v[17:18]
	ds_write_b128 v10, v[4:7] offset:27040
	v_mov_b32_e32 v4, v72
	v_mov_b32_e32 v5, v73
.LBB0_17:
	s_andn2_saveexec_b64 s[4:5], s[4:5]
	s_cbranch_execz .LBB0_19
; %bb.18:
	v_mov_b32_e32 v8, 0
	ds_read_b128 v[4:7], v8 offset:13520
	s_waitcnt lgkmcnt(0)
	v_add_f64 v[11:12], v[4:5], v[4:5]
	v_mul_f64 v[13:14], v[6:7], -2.0
	v_mov_b32_e32 v4, 0
	v_mov_b32_e32 v5, 0
	ds_write_b128 v8, v[11:14] offset:13520
.LBB0_19:
	s_or_b64 exec, exec, s[4:5]
	v_lshlrev_b64 v[4:5], 4, v[4:5]
	v_mov_b32_e32 v6, s7
	v_add_co_u32_e32 v23, vcc, s6, v4
	v_addc_co_u32_e32 v24, vcc, v6, v5, vcc
	global_load_dwordx4 v[4:7], v[23:24], off offset:2704
	s_movk_i32 s4, 0x1000
	v_add_co_u32_e32 v8, vcc, s4, v23
	v_addc_co_u32_e32 v9, vcc, 0, v24, vcc
	global_load_dwordx4 v[11:14], v[8:9], off offset:1312
	ds_write_b128 v207, v[0:3]
	ds_read_b128 v[0:3], v207 offset:2704
	ds_read_b128 v[15:18], v10 offset:24336
	global_load_dwordx4 v[19:22], v[8:9], off offset:4016
	s_movk_i32 s4, 0x2000
	s_mov_b32 s14, 0x4267c47c
	s_mov_b32 s15, 0xbfddbe06
	s_waitcnt lgkmcnt(0)
	v_add_f64 v[8:9], v[0:1], v[15:16]
	v_add_f64 v[25:26], v[17:18], v[2:3]
	v_add_f64 v[15:16], v[0:1], -v[15:16]
	v_add_f64 v[0:1], v[2:3], -v[17:18]
	s_mov_b32 s6, 0xe00740e9
	s_mov_b32 s8, 0x42a4c3d2
	;; [unrolled: 1-line block ×28, first 2 shown]
	s_movk_i32 s26, 0x82
	s_waitcnt vmcnt(2)
	v_fma_f64 v[2:3], v[15:16], v[6:7], v[8:9]
	v_fma_f64 v[17:18], v[25:26], v[6:7], v[0:1]
	v_fma_f64 v[8:9], -v[15:16], v[6:7], v[8:9]
	v_fma_f64 v[27:28], v[25:26], v[6:7], -v[0:1]
	v_fma_f64 v[0:1], -v[25:26], v[4:5], v[2:3]
	v_fma_f64 v[2:3], v[15:16], v[4:5], v[17:18]
	v_fma_f64 v[6:7], v[25:26], v[4:5], v[8:9]
	;; [unrolled: 1-line block ×3, first 2 shown]
	ds_write_b128 v207, v[0:3] offset:2704
	ds_write_b128 v10, v[6:9] offset:24336
	v_add_co_u32_e32 v0, vcc, s4, v23
	v_addc_co_u32_e32 v1, vcc, 0, v24, vcc
	ds_read_b128 v[4:7], v207 offset:5408
	ds_read_b128 v[15:18], v10 offset:21632
	global_load_dwordx4 v[0:3], v[0:1], off offset:2624
	s_mov_b32 s4, 0x1ea71119
	s_mov_b32 s5, 0x3fe22d96
	v_cmp_gt_u32_e32 vcc, s26, v72
	s_waitcnt lgkmcnt(0)
	v_add_f64 v[8:9], v[4:5], v[15:16]
	v_add_f64 v[23:24], v[17:18], v[6:7]
	v_add_f64 v[15:16], v[4:5], -v[15:16]
	v_add_f64 v[4:5], v[6:7], -v[17:18]
	s_waitcnt vmcnt(2)
	v_fma_f64 v[6:7], v[15:16], v[13:14], v[8:9]
	v_fma_f64 v[17:18], v[23:24], v[13:14], v[4:5]
	v_fma_f64 v[8:9], -v[15:16], v[13:14], v[8:9]
	v_fma_f64 v[25:26], v[23:24], v[13:14], -v[4:5]
	v_fma_f64 v[4:5], -v[23:24], v[11:12], v[6:7]
	v_fma_f64 v[6:7], v[15:16], v[11:12], v[17:18]
	v_fma_f64 v[13:14], v[23:24], v[11:12], v[8:9]
	;; [unrolled: 1-line block ×3, first 2 shown]
	ds_write_b128 v207, v[4:7] offset:5408
	ds_write_b128 v10, v[13:16] offset:21632
	ds_read_b128 v[4:7], v207 offset:8112
	ds_read_b128 v[11:14], v10 offset:18928
	s_waitcnt lgkmcnt(0)
	v_add_f64 v[8:9], v[4:5], v[11:12]
	v_add_f64 v[15:16], v[13:14], v[6:7]
	v_add_f64 v[17:18], v[4:5], -v[11:12]
	v_add_f64 v[4:5], v[6:7], -v[13:14]
	s_waitcnt vmcnt(1)
	v_fma_f64 v[6:7], v[17:18], v[21:22], v[8:9]
	v_fma_f64 v[11:12], v[15:16], v[21:22], v[4:5]
	v_fma_f64 v[8:9], -v[17:18], v[21:22], v[8:9]
	v_fma_f64 v[13:14], v[15:16], v[21:22], -v[4:5]
	v_fma_f64 v[4:5], -v[15:16], v[19:20], v[6:7]
	v_fma_f64 v[6:7], v[17:18], v[19:20], v[11:12]
	v_fma_f64 v[11:12], v[15:16], v[19:20], v[8:9]
	v_fma_f64 v[13:14], v[17:18], v[19:20], v[13:14]
	ds_write_b128 v207, v[4:7] offset:8112
	ds_write_b128 v10, v[11:14] offset:18928
	ds_read_b128 v[4:7], v207 offset:10816
	ds_read_b128 v[11:14], v10 offset:16224
	s_waitcnt lgkmcnt(0)
	v_add_f64 v[8:9], v[4:5], v[11:12]
	v_add_f64 v[15:16], v[13:14], v[6:7]
	v_add_f64 v[11:12], v[4:5], -v[11:12]
	v_add_f64 v[4:5], v[6:7], -v[13:14]
	s_waitcnt vmcnt(0)
	v_fma_f64 v[6:7], v[11:12], v[2:3], v[8:9]
	v_fma_f64 v[13:14], v[15:16], v[2:3], v[4:5]
	v_fma_f64 v[8:9], -v[11:12], v[2:3], v[8:9]
	v_fma_f64 v[17:18], v[15:16], v[2:3], -v[4:5]
	v_fma_f64 v[2:3], -v[15:16], v[0:1], v[6:7]
	v_fma_f64 v[4:5], v[11:12], v[0:1], v[13:14]
	v_fma_f64 v[6:7], v[15:16], v[0:1], v[8:9]
	v_fma_f64 v[8:9], v[11:12], v[0:1], v[17:18]
	ds_write_b128 v207, v[2:5] offset:10816
	ds_write_b128 v10, v[6:9] offset:16224
	s_waitcnt lgkmcnt(0)
	s_barrier
	s_barrier
	ds_read_b128 v[12:15], v207 offset:24960
	ds_read_b128 v[60:63], v207 offset:2080
	ds_read_b128 v[28:31], v207
	ds_read_b128 v[56:59], v207 offset:4160
	ds_read_b128 v[52:55], v207 offset:6240
	;; [unrolled: 1-line block ×10, first 2 shown]
	s_waitcnt lgkmcnt(11)
	v_add_f64 v[201:202], v[62:63], -v[14:15]
	v_add_f64 v[191:192], v[60:61], -v[12:13]
	v_add_f64 v[155:156], v[60:61], v[12:13]
	s_waitcnt lgkmcnt(7)
	v_add_f64 v[199:200], v[58:59], -v[18:19]
	v_add_f64 v[205:206], v[62:63], v[14:15]
	v_add_f64 v[185:186], v[56:57], -v[16:17]
	v_add_f64 v[151:152], v[56:57], v[16:17]
	v_add_f64 v[203:204], v[58:59], v[18:19]
	v_mul_f64 v[95:96], v[201:202], s[14:15]
	v_mul_f64 v[101:102], v[191:192], s[14:15]
	s_waitcnt lgkmcnt(6)
	v_add_f64 v[197:198], v[54:55], -v[22:23]
	v_add_f64 v[177:178], v[52:53], -v[20:21]
	v_mul_f64 v[93:94], v[199:200], s[8:9]
	v_mul_f64 v[97:98], v[185:186], s[8:9]
	;; [unrolled: 1-line block ×6, first 2 shown]
	v_fma_f64 v[0:1], v[155:156], s[6:7], v[95:96]
	v_fma_f64 v[2:3], v[205:206], s[6:7], -v[101:102]
	v_add_f64 v[147:148], v[52:53], v[20:21]
	v_add_f64 v[193:194], v[54:55], v[22:23]
	s_waitcnt lgkmcnt(3)
	v_add_f64 v[195:196], v[50:51], -v[26:27]
	v_add_f64 v[169:170], v[48:49], -v[24:25]
	v_mul_f64 v[87:88], v[197:198], s[18:19]
	v_mul_f64 v[89:90], v[177:178], s[18:19]
	v_mul_f64 v[107:108], v[199:200], s[22:23]
	v_mul_f64 v[121:122], v[185:186], s[22:23]
	v_mul_f64 v[125:126], v[199:200], s[36:37]
	v_mul_f64 v[161:162], v[185:186], s[36:37]
	v_fma_f64 v[4:5], v[151:152], s[4:5], v[93:94]
	v_fma_f64 v[6:7], v[203:204], s[4:5], -v[97:98]
	v_fma_f64 v[175:176], v[155:156], s[4:5], v[105:106]
	v_fma_f64 v[183:184], v[205:206], s[4:5], -v[137:138]
	;; [unrolled: 2-line block ×3, first 2 shown]
	v_add_f64 v[0:1], v[28:29], v[0:1]
	v_add_f64 v[2:3], v[30:31], v[2:3]
	;; [unrolled: 1-line block ×4, first 2 shown]
	s_waitcnt lgkmcnt(2)
	v_add_f64 v[157:158], v[46:47], -v[34:35]
	v_add_f64 v[167:168], v[44:45], -v[32:33]
	v_mul_f64 v[81:82], v[195:196], s[22:23]
	v_mul_f64 v[83:84], v[169:170], s[22:23]
	;; [unrolled: 1-line block ×6, first 2 shown]
	v_fma_f64 v[8:9], v[147:148], s[16:17], v[87:88]
	v_fma_f64 v[10:11], v[193:194], s[16:17], -v[89:90]
	v_fma_f64 v[179:180], v[151:152], s[20:21], v[107:108]
	v_fma_f64 v[187:188], v[203:204], s[20:21], -v[121:122]
	v_fma_f64 v[220:221], v[151:152], s[28:29], v[125:126]
	v_fma_f64 v[222:223], v[203:204], s[28:29], -v[161:162]
	v_add_f64 v[175:176], v[28:29], v[175:176]
	v_add_f64 v[183:184], v[30:31], v[183:184]
	;; [unrolled: 1-line block ×8, first 2 shown]
	v_mul_f64 v[77:78], v[157:158], s[34:35]
	v_mul_f64 v[79:80], v[167:168], s[34:35]
	;; [unrolled: 1-line block ×6, first 2 shown]
	v_fma_f64 v[64:65], v[145:146], s[20:21], v[81:82]
	v_fma_f64 v[66:67], v[181:182], s[20:21], -v[83:84]
	v_fma_f64 v[189:190], v[147:148], s[28:29], v[103:104]
	v_fma_f64 v[208:209], v[193:194], s[28:29], -v[115:116]
	;; [unrolled: 2-line block ×3, first 2 shown]
	v_add_f64 v[175:176], v[179:180], v[175:176]
	v_add_f64 v[179:180], v[187:188], v[183:184]
	;; [unrolled: 1-line block ×6, first 2 shown]
	s_waitcnt lgkmcnt(0)
	v_add_f64 v[153:154], v[42:43], -v[38:39]
	v_add_f64 v[159:160], v[40:41], -v[36:37]
	v_mul_f64 v[91:92], v[157:158], s[40:41]
	v_mul_f64 v[111:112], v[167:168], s[40:41]
	;; [unrolled: 1-line block ×4, first 2 shown]
	v_fma_f64 v[135:136], v[143:144], s[30:31], v[77:78]
	v_fma_f64 v[139:140], v[163:164], s[30:31], -v[79:80]
	v_fma_f64 v[210:211], v[145:146], s[30:31], v[99:100]
	v_fma_f64 v[212:213], v[181:182], s[30:31], -v[113:114]
	;; [unrolled: 2-line block ×3, first 2 shown]
	v_add_f64 v[175:176], v[189:190], v[175:176]
	v_add_f64 v[179:180], v[208:209], v[179:180]
	;; [unrolled: 1-line block ×8, first 2 shown]
	v_mul_f64 v[232:233], v[153:154], s[36:37]
	v_mul_f64 v[75:76], v[159:160], s[36:37]
	;; [unrolled: 1-line block ×4, first 2 shown]
	v_fma_f64 v[214:215], v[143:144], s[16:17], v[91:92]
	v_fma_f64 v[64:65], v[163:164], s[16:17], -v[111:112]
	v_fma_f64 v[66:67], v[143:144], s[4:5], v[117:118]
	v_add_f64 v[175:176], v[210:211], v[175:176]
	v_add_f64 v[179:180], v[212:213], v[179:180]
	;; [unrolled: 1-line block ×6, first 2 shown]
	v_fma_f64 v[8:9], v[163:164], s[4:5], -v[129:130]
	v_mul_f64 v[135:136], v[153:154], s[34:35]
	v_mul_f64 v[139:140], v[159:160], s[34:35]
	v_fma_f64 v[171:172], v[141:142], s[28:29], v[232:233]
	v_fma_f64 v[173:174], v[149:150], s[28:29], -v[75:76]
	v_add_f64 v[175:176], v[214:215], v[175:176]
	v_add_f64 v[64:65], v[64:65], v[179:180]
	v_fma_f64 v[179:180], v[141:142], s[6:7], v[85:86]
	v_fma_f64 v[183:184], v[149:150], s[6:7], -v[109:110]
	v_add_f64 v[66:67], v[66:67], v[4:5]
	v_add_f64 v[187:188], v[8:9], v[6:7]
	;; [unrolled: 4-line block ×3, first 2 shown]
	v_add_f64 v[4:5], v[179:180], v[175:176]
	v_add_f64 v[6:7], v[183:184], v[64:65]
	s_barrier
	v_add_f64 v[0:1], v[189:190], v[66:67]
	v_add_f64 v[2:3], v[208:209], v[187:188]
	s_and_saveexec_b64 s[26:27], vcc
	s_cbranch_execz .LBB0_21
; %bb.20:
	v_mul_f64 v[66:67], v[155:156], s[6:7]
	v_mul_f64 v[64:65], v[205:206], s[28:29]
	s_mov_b32 s45, 0x3fcea1e5
	s_mov_b32 s44, s36
	v_mul_f64 v[208:209], v[193:194], s[30:31]
	v_mul_f64 v[214:215], v[181:182], s[4:5]
	;; [unrolled: 1-line block ×4, first 2 shown]
	buffer_store_dword v66, off, s[48:51], 0 ; 4-byte Folded Spill
	s_nop 0
	buffer_store_dword v67, off, s[48:51], 0 offset:4 ; 4-byte Folded Spill
	v_mul_f64 v[66:67], v[203:204], s[6:7]
	v_fma_f64 v[183:184], v[191:192], s[44:45], v[64:65]
	v_mul_f64 v[236:237], v[199:200], s[38:39]
	v_fma_f64 v[230:231], v[177:178], s[24:25], v[208:209]
	v_fma_f64 v[238:239], v[169:170], s[8:9], v[214:215]
	;; [unrolled: 1-line block ×6, first 2 shown]
	v_add_f64 v[212:213], v[30:31], v[183:184]
	v_fma_f64 v[246:247], v[151:152], s[6:7], v[236:237]
	v_fma_f64 v[228:229], v[155:156], s[28:29], -v[228:229]
	s_mov_b32 s47, 0x3fea55e2
	v_add_f64 v[240:241], v[28:29], v[240:241]
	s_mov_b32 s46, s8
	v_mul_f64 v[242:243], v[195:196], s[46:47]
	v_fma_f64 v[66:67], v[185:186], s[38:39], v[66:67]
	v_add_f64 v[210:211], v[210:211], v[212:213]
	v_mul_f64 v[212:213], v[149:150], s[16:17]
	v_fma_f64 v[236:237], v[151:152], s[6:7], -v[236:237]
	v_add_f64 v[64:65], v[30:31], v[64:65]
	v_add_f64 v[240:241], v[246:247], v[240:241]
	;; [unrolled: 1-line block ×3, first 2 shown]
	v_fma_f64 v[208:209], v[177:178], s[34:35], v[208:209]
	v_fma_f64 v[246:247], v[145:146], s[4:5], v[242:243]
	v_add_f64 v[210:211], v[230:231], v[210:211]
	v_mul_f64 v[230:231], v[197:198], s[34:35]
	v_fma_f64 v[214:215], v[169:170], s[46:47], v[214:215]
	v_add_f64 v[64:65], v[66:67], v[64:65]
	v_fma_f64 v[234:235], v[167:168], s[22:23], v[234:235]
	v_add_f64 v[60:61], v[28:29], v[60:61]
	v_mul_f64 v[250:251], v[197:198], s[8:9]
	v_mul_f64 v[175:176], v[205:206], s[6:7]
	v_add_f64 v[210:211], v[238:239], v[210:211]
	v_fma_f64 v[238:239], v[159:160], s[18:19], v[212:213]
	v_fma_f64 v[248:249], v[147:148], s[30:31], v[230:231]
	v_fma_f64 v[230:231], v[147:148], s[30:31], -v[230:231]
	v_add_f64 v[64:65], v[208:209], v[64:65]
	v_fma_f64 v[212:213], v[159:160], s[40:41], v[212:213]
	v_add_f64 v[56:57], v[60:61], v[56:57]
	v_mul_f64 v[216:217], v[205:206], s[4:5]
	v_add_f64 v[210:211], v[244:245], v[210:211]
	v_mul_f64 v[244:245], v[157:158], s[22:23]
	;; [unrolled: 2-line block ×5, first 2 shown]
	v_add_f64 v[66:67], v[238:239], v[210:211]
	v_add_f64 v[210:211], v[236:237], v[228:229]
	v_mul_f64 v[238:239], v[205:206], s[30:31]
	v_mul_f64 v[228:229], v[153:154], s[40:41]
	v_fma_f64 v[236:237], v[143:144], s[20:21], v[244:245]
	v_add_f64 v[208:209], v[246:247], v[240:241]
	v_fma_f64 v[240:241], v[145:146], s[4:5], -v[242:243]
	v_mul_f64 v[242:243], v[203:204], s[16:17]
	v_fma_f64 v[214:215], v[143:144], s[20:21], -v[244:245]
	v_add_f64 v[210:211], v[230:231], v[210:211]
	v_fma_f64 v[246:247], v[191:192], s[24:25], v[238:239]
	v_fma_f64 v[230:231], v[141:142], s[16:17], v[228:229]
	v_add_f64 v[234:235], v[234:235], v[64:65]
	v_add_f64 v[208:209], v[236:237], v[208:209]
	v_mul_f64 v[236:237], v[193:194], s[4:5]
	v_fma_f64 v[228:229], v[141:142], s[16:17], -v[228:229]
	v_add_f64 v[48:49], v[52:53], v[48:49]
	v_add_f64 v[210:211], v[240:241], v[210:211]
	v_fma_f64 v[240:241], v[185:186], s[18:19], v[242:243]
	v_add_f64 v[244:245], v[30:31], v[246:247]
	v_mul_f64 v[246:247], v[201:202], s[34:35]
	v_add_f64 v[64:65], v[230:231], v[208:209]
	v_mul_f64 v[230:231], v[181:182], s[28:29]
	v_fma_f64 v[248:249], v[177:178], s[46:47], v[236:237]
	v_fma_f64 v[242:243], v[185:186], s[40:41], v[242:243]
	v_add_f64 v[214:215], v[214:215], v[210:211]
	v_add_f64 v[210:211], v[212:213], v[234:235]
	;; [unrolled: 1-line block ×3, first 2 shown]
	v_mul_f64 v[212:213], v[199:200], s[40:41]
	v_fma_f64 v[234:235], v[155:156], s[30:31], v[246:247]
	v_mul_f64 v[244:245], v[149:150], s[20:21]
	v_fma_f64 v[236:237], v[177:178], s[8:9], v[236:237]
	v_add_f64 v[44:45], v[48:49], v[44:45]
	v_add_f64 v[208:209], v[228:229], v[214:215]
	v_fma_f64 v[214:215], v[191:192], s[34:35], v[238:239]
	v_fma_f64 v[238:239], v[169:170], s[36:37], v[230:231]
	v_add_f64 v[240:241], v[248:249], v[240:241]
	v_mul_f64 v[228:229], v[163:164], s[6:7]
	v_fma_f64 v[248:249], v[151:152], s[16:17], v[212:213]
	v_add_f64 v[234:235], v[28:29], v[234:235]
	v_fma_f64 v[212:213], v[151:152], s[16:17], -v[212:213]
	v_fma_f64 v[230:231], v[169:170], s[44:45], v[230:231]
	v_add_f64 v[214:215], v[30:31], v[214:215]
	v_mul_f64 v[205:206], v[205:206], s[20:21]
	v_add_f64 v[238:239], v[238:239], v[240:241]
	v_fma_f64 v[240:241], v[155:156], s[30:31], -v[246:247]
	v_fma_f64 v[252:253], v[167:168], s[14:15], v[228:229]
	v_mul_f64 v[246:247], v[195:196], s[44:45]
	v_add_f64 v[234:235], v[248:249], v[234:235]
	v_fma_f64 v[248:249], v[147:148], s[4:5], v[250:251]
	v_add_f64 v[214:215], v[242:243], v[214:215]
	v_fma_f64 v[242:243], v[159:160], s[42:43], v[244:245]
	v_fma_f64 v[250:251], v[147:148], s[4:5], -v[250:251]
	v_add_f64 v[240:241], v[28:29], v[240:241]
	v_add_f64 v[238:239], v[252:253], v[238:239]
	v_fma_f64 v[252:253], v[145:146], s[28:29], v[246:247]
	v_add_f64 v[40:41], v[44:45], v[40:41]
	v_add_f64 v[234:235], v[248:249], v[234:235]
	v_mul_f64 v[248:249], v[157:158], s[38:39]
	v_add_f64 v[236:237], v[236:237], v[214:215]
	buffer_load_dword v44, off, s[48:51], 0 ; 4-byte Folded Reload
	buffer_load_dword v45, off, s[48:51], 0 offset:4 ; 4-byte Folded Reload
	v_add_f64 v[212:213], v[212:213], v[240:241]
	v_mul_f64 v[226:227], v[203:204], s[28:29]
	v_mul_f64 v[240:241], v[153:154], s[22:23]
	v_add_f64 v[214:215], v[242:243], v[238:239]
	v_add_f64 v[234:235], v[252:253], v[234:235]
	v_fma_f64 v[252:253], v[143:144], s[6:7], v[248:249]
	v_fma_f64 v[238:239], v[145:146], s[28:29], -v[246:247]
	v_fma_f64 v[228:229], v[167:168], s[38:39], v[228:229]
	v_add_f64 v[212:213], v[250:251], v[212:213]
	v_add_f64 v[230:231], v[230:231], v[236:237]
	v_mul_f64 v[203:204], v[203:204], s[30:31]
	v_fma_f64 v[242:243], v[191:192], s[42:43], v[205:206]
	v_fma_f64 v[191:192], v[191:192], s[22:23], v[205:206]
	;; [unrolled: 1-line block ×3, first 2 shown]
	v_add_f64 v[234:235], v[252:253], v[234:235]
	v_fma_f64 v[246:247], v[143:144], s[6:7], -v[248:249]
	v_add_f64 v[212:213], v[238:239], v[212:213]
	v_fma_f64 v[238:239], v[159:160], s[22:23], v[244:245]
	v_add_f64 v[228:229], v[228:229], v[230:231]
	v_mul_f64 v[230:231], v[201:202], s[22:23]
	v_mul_f64 v[244:245], v[193:194], s[6:7]
	v_fma_f64 v[201:202], v[185:186], s[34:35], v[203:204]
	v_fma_f64 v[185:186], v[185:186], s[24:25], v[203:204]
	v_add_f64 v[191:192], v[30:31], v[191:192]
	v_mul_f64 v[173:174], v[155:156], s[4:5]
	v_mul_f64 v[218:219], v[155:156], s[16:17]
	v_add_f64 v[242:243], v[30:31], v[242:243]
	v_fma_f64 v[240:241], v[141:142], s[20:21], -v[240:241]
	v_add_f64 v[246:247], v[246:247], v[212:213]
	v_add_f64 v[212:213], v[236:237], v[234:235]
	v_mul_f64 v[234:235], v[199:200], s[24:25]
	v_fma_f64 v[236:237], v[155:156], s[20:21], v[230:231]
	v_mul_f64 v[248:249], v[181:182], s[16:17]
	v_fma_f64 v[250:251], v[177:178], s[14:15], v[244:245]
	v_fma_f64 v[177:178], v[177:178], s[38:39], v[244:245]
	v_add_f64 v[185:186], v[185:186], v[191:192]
	v_fma_f64 v[155:156], v[155:156], s[20:21], -v[230:231]
	v_mul_f64 v[179:180], v[151:152], s[4:5]
	v_mul_f64 v[189:190], v[151:152], s[20:21]
	;; [unrolled: 1-line block ×3, first 2 shown]
	v_add_f64 v[242:243], v[201:202], v[242:243]
	v_add_f64 v[201:202], v[238:239], v[228:229]
	;; [unrolled: 1-line block ×3, first 2 shown]
	v_mul_f64 v[228:229], v[163:164], s[28:29]
	v_fma_f64 v[238:239], v[151:152], s[30:31], v[234:235]
	v_add_f64 v[236:237], v[28:29], v[236:237]
	v_mul_f64 v[197:198], v[197:198], s[38:39]
	v_fma_f64 v[240:241], v[169:170], s[40:41], v[248:249]
	v_fma_f64 v[169:170], v[169:170], s[18:19], v[248:249]
	v_add_f64 v[177:178], v[177:178], v[185:186]
	v_fma_f64 v[151:152], v[151:152], s[30:31], -v[234:235]
	v_add_f64 v[155:156], v[28:29], v[155:156]
	v_mul_f64 v[183:184], v[147:148], s[16:17]
	v_mul_f64 v[254:255], v[147:148], s[28:29]
	v_add_f64 v[242:243], v[250:251], v[242:243]
	v_mul_f64 v[250:251], v[147:148], s[20:21]
	v_fma_f64 v[205:206], v[167:168], s[36:37], v[228:229]
	v_add_f64 v[236:237], v[238:239], v[236:237]
	v_fma_f64 v[238:239], v[147:148], s[6:7], v[197:198]
	v_mul_f64 v[195:196], v[195:196], s[18:19]
	v_fma_f64 v[167:168], v[167:168], s[44:45], v[228:229]
	v_mul_f64 v[234:235], v[149:150], s[4:5]
	v_add_f64 v[169:170], v[169:170], v[177:178]
	v_fma_f64 v[147:148], v[147:148], s[6:7], -v[197:198]
	v_add_f64 v[151:152], v[151:152], v[155:156]
	v_add_f64 v[62:63], v[30:31], v[62:63]
	;; [unrolled: 1-line block ×3, first 2 shown]
	v_fma_f64 v[238:239], v[145:146], s[16:17], v[195:196]
	v_mul_f64 v[157:158], v[157:158], s[44:45]
	v_fma_f64 v[155:156], v[159:160], s[8:9], v[234:235]
	v_fma_f64 v[159:160], v[159:160], s[46:47], v[234:235]
	v_add_f64 v[167:168], v[167:168], v[169:170]
	v_fma_f64 v[195:196], v[145:146], s[16:17], -v[195:196]
	v_add_f64 v[147:148], v[147:148], v[151:152]
	v_add_f64 v[165:166], v[165:166], v[220:221]
	;; [unrolled: 1-line block ×3, first 2 shown]
	v_mul_f64 v[171:172], v[193:194], s[16:17]
	v_mul_f64 v[246:247], v[193:194], s[28:29]
	;; [unrolled: 1-line block ×3, first 2 shown]
	v_add_f64 v[236:237], v[238:239], v[236:237]
	v_mul_f64 v[238:239], v[143:144], s[30:31]
	v_mul_f64 v[248:249], v[143:144], s[16:17]
	;; [unrolled: 1-line block ×4, first 2 shown]
	v_fma_f64 v[169:170], v[143:144], s[28:29], v[157:158]
	v_mul_f64 v[252:253], v[149:150], s[6:7]
	v_mul_f64 v[73:74], v[149:150], s[30:31]
	v_fma_f64 v[143:144], v[143:144], s[28:29], -v[157:158]
	v_add_f64 v[147:148], v[195:196], v[147:148]
	v_add_f64 v[149:150], v[159:160], v[167:168]
	;; [unrolled: 1-line block ×6, first 2 shown]
	v_mul_f64 v[203:204], v[181:182], s[20:21]
	v_mul_f64 v[244:245], v[181:182], s[30:31]
	;; [unrolled: 1-line block ×3, first 2 shown]
	v_add_f64 v[143:144], v[143:144], v[147:148]
	v_add_f64 v[133:134], v[133:134], v[193:194]
	v_add_f64 v[127:128], v[218:219], -v[127:128]
	v_add_f64 v[147:148], v[157:158], v[159:160]
	v_add_f64 v[121:122], v[121:122], v[222:223]
	;; [unrolled: 1-line block ×4, first 2 shown]
	v_mul_f64 v[230:231], v[163:164], s[30:31]
	v_mul_f64 v[185:186], v[163:164], s[16:17]
	;; [unrolled: 1-line block ×3, first 2 shown]
	v_add_f64 v[60:61], v[131:132], v[181:182]
	v_add_f64 v[62:63], v[224:225], -v[125:126]
	v_add_f64 v[125:126], v[28:29], v[127:128]
	v_add_f64 v[127:128], v[133:134], v[147:148]
	;; [unrolled: 1-line block ×6, first 2 shown]
	v_add_f64 v[58:59], v[250:251], -v[123:124]
	v_add_f64 v[113:114], v[113:114], v[244:245]
	v_add_f64 v[62:63], v[62:63], v[125:126]
	;; [unrolled: 1-line block ×7, first 2 shown]
	s_waitcnt vmcnt(0)
	v_add_f64 v[44:45], v[44:45], -v[95:96]
	v_add_f64 v[46:47], v[173:174], -v[105:106]
	v_add_f64 v[58:59], v[58:59], v[62:63]
	v_add_f64 v[56:57], v[56:57], v[60:61]
	;; [unrolled: 1-line block ×8, first 2 shown]
	v_add_f64 v[73:74], v[179:180], -v[93:94]
	v_add_f64 v[40:41], v[28:29], v[44:45]
	v_add_f64 v[240:241], v[240:241], v[242:243]
	v_add_f64 v[60:61], v[60:61], v[62:63]
	v_add_f64 v[62:63], v[189:190], -v[107:108]
	v_add_f64 v[28:29], v[28:29], v[46:47]
	v_add_f64 v[44:45], v[89:90], v[171:172]
	;; [unrolled: 1-line block ×5, first 2 shown]
	v_mul_f64 v[242:243], v[145:146], s[20:21]
	v_add_f64 v[46:47], v[183:184], -v[87:88]
	v_add_f64 v[36:37], v[73:74], v[40:41]
	v_add_f64 v[205:206], v[205:206], v[240:241]
	v_mul_f64 v[240:241], v[145:146], s[30:31]
	v_add_f64 v[42:43], v[254:255], -v[103:104]
	v_add_f64 v[28:29], v[62:63], v[28:29]
	v_mul_f64 v[191:192], v[145:146], s[6:7]
	v_add_f64 v[40:41], v[83:84], v[203:204]
	v_add_f64 v[30:31], v[44:45], v[30:31]
	;; [unrolled: 1-line block ×4, first 2 shown]
	v_add_f64 v[44:45], v[242:243], -v[81:82]
	v_add_f64 v[32:33], v[46:47], v[36:37]
	v_add_f64 v[38:39], v[240:241], -v[99:100]
	v_add_f64 v[28:29], v[42:43], v[28:29]
	;; [unrolled: 2-line block ×3, first 2 shown]
	v_add_f64 v[30:31], v[40:41], v[30:31]
	v_add_f64 v[22:23], v[26:27], v[22:23]
	;; [unrolled: 1-line block ×3, first 2 shown]
	v_mul_f64 v[177:178], v[141:142], s[28:29]
	v_add_f64 v[40:41], v[238:239], -v[77:78]
	v_add_f64 v[24:25], v[44:45], v[32:33]
	v_mul_f64 v[234:235], v[141:142], s[6:7]
	v_add_f64 v[34:35], v[248:249], -v[91:92]
	v_add_f64 v[26:27], v[38:39], v[28:29]
	;; [unrolled: 3-line block ×3, first 2 shown]
	v_mul_f64 v[153:154], v[153:154], s[46:47]
	v_add_f64 v[28:29], v[75:76], v[197:198]
	v_add_f64 v[30:31], v[36:37], v[30:31]
	;; [unrolled: 1-line block ×4, first 2 shown]
	v_add_f64 v[36:37], v[177:178], -v[232:233]
	v_add_f64 v[38:39], v[40:41], v[24:25]
	v_add_f64 v[58:59], v[109:110], v[252:253]
	v_add_f64 v[32:33], v[234:235], -v[85:86]
	v_add_f64 v[34:35], v[34:35], v[26:27]
	v_add_f64 v[48:49], v[151:152], -v[135:136]
	v_add_f64 v[40:41], v[50:51], v[54:55]
	v_add_f64 v[145:146], v[155:156], v[205:206]
	v_fma_f64 v[155:156], v[141:142], s[4:5], v[153:154]
	v_fma_f64 v[141:142], v[141:142], s[4:5], -v[153:154]
	v_add_f64 v[169:170], v[169:170], v[236:237]
	v_add_f64 v[24:25], v[28:29], v[30:31]
	;; [unrolled: 1-line block ×10, first 2 shown]
	s_movk_i32 s4, 0xc0
	v_mad_u32_u24 v12, v72, s4, v207
	v_add_f64 v[143:144], v[155:156], v[169:170]
	ds_write_b128 v12, v[26:29]
	ds_write_b128 v12, v[22:25] offset:16
	ds_write_b128 v12, v[18:21] offset:32
	;; [unrolled: 1-line block ×12, first 2 shown]
.LBB0_21:
	s_or_b64 exec, exec, s[26:27]
	s_movk_i32 s4, 0x4f
	v_mul_lo_u16_sdwa v12, v72, s4 dst_sel:DWORD dst_unused:UNUSED_PAD src0_sel:BYTE_0 src1_sel:DWORD
	v_lshrrev_b16_e32 v111, 10, v12
	v_mul_lo_u16_e32 v12, 13, v111
	v_sub_u16_e32 v112, v72, v12
	v_mov_b32_e32 v12, 9
	v_mul_u32_u24_sdwa v12, v112, v12 dst_sel:DWORD dst_unused:UNUSED_PAD src0_sel:BYTE_0 src1_sel:DWORD
	v_lshlrev_b32_e32 v48, 4, v12
	s_waitcnt lgkmcnt(0)
	s_barrier
	global_load_dwordx4 v[12:15], v48, s[12:13]
	global_load_dwordx4 v[16:19], v48, s[12:13] offset:16
	global_load_dwordx4 v[20:23], v48, s[12:13] offset:32
	global_load_dwordx4 v[24:27], v48, s[12:13] offset:48
	global_load_dwordx4 v[28:31], v48, s[12:13] offset:64
	global_load_dwordx4 v[32:35], v48, s[12:13] offset:80
	global_load_dwordx4 v[36:39], v48, s[12:13] offset:96
	global_load_dwordx4 v[40:43], v48, s[12:13] offset:112
	global_load_dwordx4 v[44:47], v48, s[12:13] offset:128
	ds_read_b128 v[48:51], v207
	ds_read_b128 v[52:55], v207 offset:2704
	ds_read_b128 v[56:59], v207 offset:5408
	;; [unrolled: 1-line block ×9, first 2 shown]
	s_mov_b32 s4, 0x134454ff
	s_mov_b32 s5, 0x3fee6f0e
	;; [unrolled: 1-line block ×12, first 2 shown]
	s_waitcnt vmcnt(0) lgkmcnt(0)
	s_barrier
	v_mul_f64 v[93:94], v[54:55], v[14:15]
	v_mul_f64 v[14:15], v[52:53], v[14:15]
	;; [unrolled: 1-line block ×18, first 2 shown]
	v_fma_f64 v[52:53], v[52:53], v[12:13], -v[93:94]
	v_fma_f64 v[12:13], v[54:55], v[12:13], v[14:15]
	v_fma_f64 v[14:15], v[56:57], v[16:17], -v[95:96]
	v_fma_f64 v[16:17], v[58:59], v[16:17], v[18:19]
	;; [unrolled: 2-line block ×6, first 2 shown]
	v_fma_f64 v[34:35], v[87:88], v[40:41], v[42:43]
	v_fma_f64 v[42:43], v[81:82], v[36:37], -v[105:106]
	v_fma_f64 v[36:37], v[83:84], v[36:37], v[38:39]
	v_fma_f64 v[38:39], v[85:86], v[40:41], -v[107:108]
	v_fma_f64 v[40:41], v[89:90], v[44:45], -v[109:110]
	v_fma_f64 v[44:45], v[91:92], v[44:45], v[46:47]
	v_add_f64 v[46:47], v[48:49], v[14:15]
	v_add_f64 v[54:55], v[22:23], v[30:31]
	v_add_f64 v[60:61], v[14:15], -v[22:23]
	v_add_f64 v[75:76], v[50:51], v[16:17]
	v_add_f64 v[77:78], v[24:25], v[32:33]
	v_add_f64 v[62:63], v[38:39], -v[30:31]
	v_add_f64 v[64:65], v[14:15], v[38:39]
	v_add_f64 v[56:57], v[16:17], -v[34:35]
	v_add_f64 v[58:59], v[24:25], -v[32:33]
	;; [unrolled: 1-line block ×7, first 2 shown]
	v_add_f64 v[85:86], v[16:17], v[34:35]
	v_add_f64 v[16:17], v[24:25], -v[16:17]
	v_add_f64 v[91:92], v[26:27], v[42:43]
	v_add_f64 v[22:23], v[46:47], v[22:23]
	v_fma_f64 v[46:47], v[54:55], -0.5, v[48:49]
	v_add_f64 v[54:55], v[60:61], v[62:63]
	v_fma_f64 v[48:49], v[64:65], -0.5, v[48:49]
	;; [unrolled: 2-line block ×3, first 2 shown]
	v_add_f64 v[83:84], v[34:35], -v[32:33]
	v_add_f64 v[87:88], v[32:33], -v[34:35]
	v_add_f64 v[89:90], v[52:53], v[18:19]
	v_add_f64 v[93:94], v[20:21], -v[44:45]
	v_add_f64 v[60:61], v[66:67], v[73:74]
	v_fma_f64 v[50:51], v[85:86], -0.5, v[50:51]
	v_fma_f64 v[73:74], v[91:92], -0.5, v[52:53]
	v_add_f64 v[22:23], v[22:23], v[30:31]
	v_fma_f64 v[30:31], v[56:57], s[4:5], v[46:47]
	v_fma_f64 v[46:47], v[56:57], s[14:15], v[46:47]
	;; [unrolled: 1-line block ×4, first 2 shown]
	v_add_f64 v[24:25], v[24:25], v[32:33]
	v_fma_f64 v[32:33], v[14:15], s[14:15], v[62:63]
	v_fma_f64 v[62:63], v[14:15], s[4:5], v[62:63]
	v_add_f64 v[95:96], v[28:29], -v[36:37]
	v_add_f64 v[97:98], v[18:19], -v[26:27]
	;; [unrolled: 1-line block ×3, first 2 shown]
	v_add_f64 v[101:102], v[18:19], v[40:41]
	v_add_f64 v[64:65], v[81:82], v[83:84]
	;; [unrolled: 1-line block ×3, first 2 shown]
	v_fma_f64 v[77:78], v[79:80], s[4:5], v[50:51]
	v_fma_f64 v[50:51], v[79:80], s[14:15], v[50:51]
	;; [unrolled: 1-line block ×8, first 2 shown]
	v_add_f64 v[38:39], v[22:23], v[38:39]
	v_fma_f64 v[22:23], v[79:80], s[6:7], v[62:63]
	v_add_f64 v[34:35], v[24:25], v[34:35]
	v_fma_f64 v[56:57], v[54:55], s[8:9], v[30:31]
	v_fma_f64 v[46:47], v[54:55], s[8:9], v[46:47]
	;; [unrolled: 1-line block ×6, first 2 shown]
	v_add_f64 v[16:17], v[16:17], v[87:88]
	v_fma_f64 v[60:61], v[64:65], s[8:9], v[22:23]
	v_fma_f64 v[22:23], v[101:102], -0.5, v[52:53]
	v_fma_f64 v[14:15], v[14:15], s[6:7], v[50:51]
	v_add_f64 v[30:31], v[66:67], v[42:43]
	v_fma_f64 v[32:33], v[95:96], s[6:7], v[81:82]
	v_add_f64 v[50:51], v[97:98], v[99:100]
	v_add_f64 v[52:53], v[28:29], v[36:37]
	v_fma_f64 v[62:63], v[16:17], s[8:9], v[24:25]
	v_fma_f64 v[24:25], v[93:94], s[14:15], v[73:74]
	;; [unrolled: 1-line block ×4, first 2 shown]
	v_add_f64 v[73:74], v[30:31], v[40:41]
	v_add_f64 v[14:15], v[20:21], v[44:45]
	v_fma_f64 v[16:17], v[50:51], s[8:9], v[32:33]
	v_fma_f64 v[30:31], v[52:53], -0.5, v[12:13]
	v_add_f64 v[32:33], v[18:19], -v[40:41]
	v_add_f64 v[75:76], v[26:27], -v[42:43]
	v_fma_f64 v[52:53], v[93:94], s[6:7], v[64:65]
	v_add_f64 v[64:65], v[12:13], v[20:21]
	v_fma_f64 v[22:23], v[95:96], s[4:5], v[22:23]
	v_fma_f64 v[12:13], v[14:15], -0.5, v[12:13]
	v_add_f64 v[14:15], v[26:27], -v[18:19]
	v_add_f64 v[18:19], v[42:43], -v[40:41]
	v_fma_f64 v[26:27], v[32:33], s[14:15], v[30:31]
	v_add_f64 v[40:41], v[20:21], -v[28:29]
	v_add_f64 v[42:43], v[44:45], -v[36:37]
	v_add_f64 v[64:65], v[64:65], v[28:29]
	v_add_f64 v[20:21], v[28:29], -v[20:21]
	v_fma_f64 v[77:78], v[75:76], s[4:5], v[12:13]
	v_add_f64 v[28:29], v[36:37], -v[44:45]
	v_fma_f64 v[30:31], v[32:33], s[4:5], v[30:31]
	v_fma_f64 v[26:27], v[75:76], s[16:17], v[26:27]
	;; [unrolled: 1-line block ×3, first 2 shown]
	v_add_f64 v[40:41], v[40:41], v[42:43]
	v_fma_f64 v[24:25], v[95:96], s[16:17], v[24:25]
	v_add_f64 v[14:15], v[14:15], v[18:19]
	v_fma_f64 v[18:19], v[93:94], s[16:17], v[22:23]
	v_fma_f64 v[22:23], v[32:33], s[16:17], v[77:78]
	v_add_f64 v[20:21], v[20:21], v[28:29]
	v_add_f64 v[28:29], v[64:65], v[36:37]
	v_fma_f64 v[30:31], v[75:76], s[6:7], v[30:31]
	v_fma_f64 v[26:27], v[40:41], s[8:9], v[26:27]
	;; [unrolled: 1-line block ×7, first 2 shown]
	v_add_f64 v[42:43], v[28:29], v[44:45]
	v_fma_f64 v[22:23], v[40:41], s[8:9], v[30:31]
	v_mul_f64 v[28:29], v[26:27], s[6:7]
	v_fma_f64 v[20:21], v[20:21], s[8:9], v[12:13]
	v_mul_f64 v[40:41], v[24:25], s[18:19]
	v_mul_f64 v[50:51], v[32:33], s[14:15]
	;; [unrolled: 1-line block ×4, first 2 shown]
	v_add_f64 v[12:13], v[38:39], v[73:74]
	v_mul_f64 v[64:65], v[22:23], s[18:19]
	v_fma_f64 v[44:45], v[16:17], s[18:19], v[28:29]
	v_mul_f64 v[28:29], v[16:17], s[16:17]
	v_mul_f64 v[52:53], v[20:21], s[8:9]
	v_fma_f64 v[79:80], v[22:23], s[6:7], -v[40:41]
	v_fma_f64 v[77:78], v[20:21], s[4:5], -v[36:37]
	v_fma_f64 v[75:76], v[32:33], s[8:9], v[30:31]
	v_fma_f64 v[50:51], v[18:19], s[8:9], v[50:51]
	v_fma_f64 v[64:65], v[24:25], s[16:17], -v[64:65]
	v_add_f64 v[16:17], v[56:57], v[44:45]
	v_fma_f64 v[81:82], v[26:27], s[18:19], v[28:29]
	v_fma_f64 v[52:53], v[14:15], s[14:15], -v[52:53]
	v_add_f64 v[28:29], v[46:47], v[79:80]
	v_add_f64 v[24:25], v[48:49], v[77:78]
	;; [unrolled: 1-line block ×8, first 2 shown]
	v_add_f64 v[32:33], v[38:39], -v[73:74]
	v_add_f64 v[36:37], v[56:57], -v[44:45]
	;; [unrolled: 1-line block ×10, first 2 shown]
	v_mov_b32_e32 v53, 4
	v_mul_u32_u24_e32 v52, 0x820, v111
	v_lshlrev_b32_sdwa v53, v53, v112 dst_sel:DWORD dst_unused:UNUSED_PAD src0_sel:DWORD src1_sel:BYTE_0
	v_add3_u32 v52, 0, v52, v53
	ds_write_b128 v52, v[12:15]
	ds_write_b128 v52, v[16:19] offset:208
	ds_write_b128 v52, v[20:23] offset:416
	;; [unrolled: 1-line block ×9, first 2 shown]
	s_waitcnt lgkmcnt(0)
	s_barrier
	s_and_saveexec_b64 s[4:5], vcc
	s_cbranch_execz .LBB0_23
; %bb.22:
	ds_read_b128 v[12:15], v207
	ds_read_b128 v[16:19], v207 offset:2080
	ds_read_b128 v[20:23], v207 offset:4160
	;; [unrolled: 1-line block ×12, first 2 shown]
.LBB0_23:
	s_or_b64 exec, exec, s[4:5]
	s_waitcnt lgkmcnt(0)
	s_barrier
	s_and_saveexec_b64 s[4:5], vcc
	s_cbranch_execz .LBB0_25
; %bb.24:
	v_add_u32_e32 v52, 0xffffff7e, v72
	v_cndmask_b32_e32 v52, v52, v72, vcc
	v_mul_i32_i24_e32 v52, 12, v52
	v_mov_b32_e32 v53, 0
	v_lshlrev_b64 v[52:53], 4, v[52:53]
	v_mov_b32_e32 v54, s13
	v_add_co_u32_e32 v56, vcc, s12, v52
	v_addc_co_u32_e32 v57, vcc, v54, v53, vcc
	global_load_dwordx4 v[52:55], v[56:57], off offset:1952
	global_load_dwordx4 v[58:61], v[56:57], off offset:1968
	;; [unrolled: 1-line block ×12, first 2 shown]
	s_mov_b32 s22, 0x93053d00
	s_mov_b32 s23, 0xbfef11f4
	;; [unrolled: 1-line block ×35, first 2 shown]
	s_waitcnt vmcnt(11)
	v_mul_f64 v[56:57], v[36:37], v[54:55]
	s_waitcnt vmcnt(10)
	v_mul_f64 v[66:67], v[40:41], v[60:61]
	v_mul_f64 v[109:110], v[38:39], v[54:55]
	;; [unrolled: 1-line block ×3, first 2 shown]
	s_waitcnt vmcnt(9)
	v_mul_f64 v[111:112], v[32:33], v[64:65]
	s_waitcnt vmcnt(8)
	v_mul_f64 v[113:114], v[44:45], v[75:76]
	;; [unrolled: 2-line block ×3, first 2 shown]
	v_mul_f64 v[83:84], v[50:51], v[83:84]
	s_waitcnt vmcnt(5)
	v_mul_f64 v[119:120], v[24:25], v[87:88]
	s_waitcnt vmcnt(2)
	v_mul_f64 v[125:126], v[4:5], v[99:100]
	v_mul_f64 v[127:128], v[6:7], v[99:100]
	s_waitcnt vmcnt(1)
	v_mul_f64 v[99:100], v[16:17], v[103:104]
	s_waitcnt vmcnt(0)
	v_mul_f64 v[129:130], v[8:9], v[107:108]
	v_mul_f64 v[64:65], v[34:35], v[64:65]
	;; [unrolled: 1-line block ×6, first 2 shown]
	v_fma_f64 v[54:55], v[38:39], v[52:53], v[56:57]
	v_fma_f64 v[42:43], v[42:43], v[58:59], v[66:67]
	v_fma_f64 v[56:57], v[36:37], v[52:53], -v[109:110]
	v_fma_f64 v[52:53], v[40:41], v[58:59], -v[60:61]
	v_fma_f64 v[58:59], v[34:35], v[62:63], v[111:112]
	v_fma_f64 v[38:39], v[46:47], v[73:74], v[113:114]
	;; [unrolled: 1-line block ×3, first 2 shown]
	v_fma_f64 v[36:37], v[48:49], v[81:82], -v[83:84]
	v_fma_f64 v[81:82], v[26:27], v[85:86], v[119:120]
	v_fma_f64 v[113:114], v[18:19], v[101:102], v[99:100]
	;; [unrolled: 1-line block ×3, first 2 shown]
	v_mul_f64 v[75:76], v[46:47], v[75:76]
	v_mul_f64 v[115:116], v[28:29], v[79:80]
	;; [unrolled: 1-line block ×6, first 2 shown]
	v_fma_f64 v[85:86], v[24:25], v[85:86], -v[87:88]
	v_fma_f64 v[99:100], v[22:23], v[93:94], v[123:124]
	v_fma_f64 v[24:25], v[6:7], v[97:98], v[125:126]
	v_fma_f64 v[111:112], v[16:17], v[101:102], -v[103:104]
	v_fma_f64 v[22:23], v[8:9], v[105:106], -v[107:108]
	v_add_f64 v[119:120], v[113:114], v[26:27]
	v_fma_f64 v[60:61], v[32:33], v[62:63], -v[64:65]
	v_fma_f64 v[40:41], v[44:45], v[73:74], -v[75:76]
	v_fma_f64 v[66:67], v[30:31], v[77:78], v[115:116]
	v_fma_f64 v[73:74], v[28:29], v[77:78], -v[79:80]
	v_fma_f64 v[28:29], v[2:3], v[89:90], v[121:122]
	v_fma_f64 v[32:33], v[0:1], v[89:90], -v[91:92]
	v_fma_f64 v[105:106], v[20:21], v[93:94], -v[95:96]
	v_fma_f64 v[30:31], v[4:5], v[97:98], -v[127:128]
	v_add_f64 v[117:118], v[99:100], v[24:25]
	v_add_f64 v[77:78], v[111:112], -v[22:23]
	v_mul_f64 v[0:1], v[119:120], s[22:23]
	v_add_f64 v[97:98], v[113:114], -v[26:27]
	v_add_f64 v[115:116], v[81:82], v[28:29]
	v_add_f64 v[109:110], v[66:67], v[34:35]
	v_add_f64 v[64:65], v[85:86], -v[32:33]
	v_add_f64 v[75:76], v[105:106], -v[30:31]
	v_mul_f64 v[2:3], v[117:118], s[26:27]
	v_add_f64 v[101:102], v[99:100], -v[24:25]
	v_fma_f64 v[4:5], v[77:78], s[24:25], v[0:1]
	v_add_f64 v[93:94], v[111:112], v[22:23]
	v_mul_f64 v[6:7], v[115:116], s[14:15]
	v_mul_f64 v[16:17], v[97:98], s[38:39]
	v_add_f64 v[50:51], v[73:74], -v[36:37]
	v_mul_f64 v[10:11], v[109:110], s[16:17]
	v_fma_f64 v[8:9], v[75:76], s[30:31], v[2:3]
	v_add_f64 v[107:108], v[81:82], -v[28:29]
	v_add_f64 v[4:5], v[14:15], v[4:5]
	v_add_f64 v[95:96], v[105:106], v[30:31]
	v_fma_f64 v[18:19], v[64:65], s[28:29], v[6:7]
	v_mul_f64 v[121:122], v[101:102], s[44:45]
	v_fma_f64 v[125:126], v[93:94], s[22:23], v[16:17]
	v_fma_f64 v[0:1], v[77:78], s[38:39], v[0:1]
	v_fma_f64 v[16:17], v[93:94], s[22:23], -v[16:17]
	v_add_f64 v[89:90], v[58:59], v[38:39]
	v_add_f64 v[4:5], v[8:9], v[4:5]
	v_add_f64 v[103:104], v[66:67], -v[34:35]
	v_add_f64 v[83:84], v[85:86], v[32:33]
	v_fma_f64 v[123:124], v[50:51], s[18:19], v[10:11]
	v_mul_f64 v[127:128], v[107:108], s[36:37]
	v_fma_f64 v[131:132], v[95:96], s[26:27], v[121:122]
	v_add_f64 v[125:126], v[12:13], v[125:126]
	v_fma_f64 v[2:3], v[75:76], s[44:45], v[2:3]
	v_add_f64 v[4:5], v[18:19], v[4:5]
	v_add_f64 v[0:1], v[14:15], v[0:1]
	v_fma_f64 v[121:122], v[95:96], s[26:27], -v[121:122]
	v_add_f64 v[16:17], v[12:13], v[16:17]
	v_add_f64 v[79:80], v[54:55], v[42:43]
	v_add_f64 v[46:47], v[60:61], -v[40:41]
	v_add_f64 v[91:92], v[58:59], -v[38:39]
	v_add_f64 v[62:63], v[73:74], v[36:37]
	v_mul_f64 v[8:9], v[89:90], s[8:9]
	v_add_f64 v[4:5], v[123:124], v[4:5]
	v_mul_f64 v[123:124], v[103:104], s[42:43]
	v_fma_f64 v[133:134], v[83:84], s[14:15], v[127:128]
	v_add_f64 v[125:126], v[131:132], v[125:126]
	v_fma_f64 v[6:7], v[64:65], s[36:37], v[6:7]
	v_add_f64 v[0:1], v[2:3], v[0:1]
	v_fma_f64 v[2:3], v[83:84], s[14:15], -v[127:128]
	v_add_f64 v[16:17], v[121:122], v[16:17]
	v_add_f64 v[20:21], v[56:57], -v[52:53]
	v_add_f64 v[87:88], v[54:55], -v[42:43]
	v_add_f64 v[48:49], v[60:61], v[40:41]
	v_mul_f64 v[18:19], v[79:80], s[6:7]
	v_fma_f64 v[129:130], v[46:47], s[20:21], v[8:9]
	v_mul_f64 v[121:122], v[91:92], s[34:35]
	v_fma_f64 v[127:128], v[62:63], s[16:17], v[123:124]
	v_add_f64 v[125:126], v[133:134], v[125:126]
	v_fma_f64 v[10:11], v[50:51], s[42:43], v[10:11]
	v_add_f64 v[0:1], v[6:7], v[0:1]
	v_fma_f64 v[6:7], v[62:63], s[16:17], -v[123:124]
	v_add_f64 v[2:3], v[2:3], v[16:17]
	v_add_f64 v[44:45], v[56:57], v[52:53]
	v_mul_f64 v[16:17], v[87:88], s[40:41]
	v_fma_f64 v[123:124], v[48:49], s[8:9], v[121:122]
	v_add_f64 v[125:126], v[127:128], v[125:126]
	v_fma_f64 v[127:128], v[20:21], s[12:13], v[18:19]
	v_fma_f64 v[8:9], v[46:47], s[34:35], v[8:9]
	v_add_f64 v[0:1], v[10:11], v[0:1]
	v_fma_f64 v[10:11], v[48:49], s[8:9], -v[121:122]
	v_add_f64 v[2:3], v[6:7], v[2:3]
	v_add_f64 v[4:5], v[129:130], v[4:5]
	v_fma_f64 v[6:7], v[44:45], s[6:7], v[16:17]
	v_add_f64 v[121:122], v[123:124], v[125:126]
	v_mul_f64 v[123:124], v[119:120], s[14:15]
	v_fma_f64 v[18:19], v[20:21], s[40:41], v[18:19]
	v_add_f64 v[8:9], v[8:9], v[0:1]
	v_fma_f64 v[16:17], v[44:45], s[6:7], -v[16:17]
	v_add_f64 v[10:11], v[10:11], v[2:3]
	v_add_f64 v[2:3], v[127:128], v[4:5]
	v_mul_f64 v[127:128], v[97:98], s[36:37]
	v_mul_f64 v[125:126], v[117:118], s[6:7]
	v_fma_f64 v[129:130], v[77:78], s[28:29], v[123:124]
	v_add_f64 v[0:1], v[6:7], v[121:122]
	v_add_f64 v[6:7], v[18:19], v[8:9]
	v_mul_f64 v[8:9], v[115:116], s[16:17]
	v_add_f64 v[4:5], v[16:17], v[10:11]
	v_mul_f64 v[16:17], v[101:102], s[40:41]
	v_fma_f64 v[18:19], v[93:94], s[14:15], v[127:128]
	v_fma_f64 v[10:11], v[75:76], s[12:13], v[125:126]
	v_add_f64 v[121:122], v[14:15], v[129:130]
	v_fma_f64 v[123:124], v[77:78], s[36:37], v[123:124]
	v_mul_f64 v[135:136], v[107:108], s[18:19]
	v_mul_f64 v[131:132], v[109:110], s[22:23]
	v_fma_f64 v[133:134], v[64:65], s[42:43], v[8:9]
	v_fma_f64 v[137:138], v[95:96], s[6:7], v[16:17]
	v_add_f64 v[18:19], v[12:13], v[18:19]
	v_fma_f64 v[125:126], v[75:76], s[40:41], v[125:126]
	v_add_f64 v[10:11], v[10:11], v[121:122]
	v_add_f64 v[123:124], v[14:15], v[123:124]
	v_mul_f64 v[141:142], v[103:104], s[24:25]
	v_fma_f64 v[143:144], v[83:84], s[16:17], v[135:136]
	v_mul_f64 v[121:122], v[89:90], s[26:27]
	v_fma_f64 v[139:140], v[50:51], s[38:39], v[131:132]
	v_add_f64 v[18:19], v[137:138], v[18:19]
	v_fma_f64 v[8:9], v[64:65], s[18:19], v[8:9]
	v_add_f64 v[10:11], v[133:134], v[10:11]
	v_fma_f64 v[127:128], v[93:94], s[14:15], -v[127:128]
	v_add_f64 v[123:124], v[125:126], v[123:124]
	v_mul_f64 v[125:126], v[91:92], s[44:45]
	v_fma_f64 v[137:138], v[62:63], s[22:23], v[141:142]
	v_mul_f64 v[129:130], v[79:80], s[8:9]
	v_add_f64 v[18:19], v[143:144], v[18:19]
	v_fma_f64 v[133:134], v[46:47], s[30:31], v[121:122]
	v_add_f64 v[10:11], v[139:140], v[10:11]
	v_fma_f64 v[131:132], v[50:51], s[24:25], v[131:132]
	v_fma_f64 v[16:17], v[95:96], s[6:7], -v[16:17]
	v_add_f64 v[127:128], v[12:13], v[127:128]
	v_add_f64 v[8:9], v[8:9], v[123:124]
	v_mul_f64 v[123:124], v[87:88], s[34:35]
	v_fma_f64 v[139:140], v[48:49], s[26:27], v[125:126]
	v_add_f64 v[18:19], v[137:138], v[18:19]
	v_fma_f64 v[137:138], v[20:21], s[20:21], v[129:130]
	v_fma_f64 v[121:122], v[46:47], s[44:45], v[121:122]
	v_fma_f64 v[135:136], v[83:84], s[16:17], -v[135:136]
	v_add_f64 v[16:17], v[16:17], v[127:128]
	v_add_f64 v[8:9], v[131:132], v[8:9]
	;; [unrolled: 1-line block ×3, first 2 shown]
	v_fma_f64 v[127:128], v[44:45], s[8:9], v[123:124]
	v_add_f64 v[18:19], v[139:140], v[18:19]
	v_mul_f64 v[133:134], v[119:120], s[8:9]
	v_fma_f64 v[129:130], v[20:21], s[34:35], v[129:130]
	v_fma_f64 v[131:132], v[62:63], s[22:23], -v[141:142]
	v_add_f64 v[16:17], v[135:136], v[16:17]
	v_add_f64 v[121:122], v[121:122], v[8:9]
	;; [unrolled: 1-line block ×3, first 2 shown]
	v_mul_f64 v[135:136], v[97:98], s[34:35]
	v_add_f64 v[8:9], v[127:128], v[18:19]
	v_mul_f64 v[127:128], v[117:118], s[14:15]
	v_fma_f64 v[137:138], v[77:78], s[20:21], v[133:134]
	v_fma_f64 v[125:126], v[48:49], s[26:27], -v[125:126]
	v_add_f64 v[16:17], v[131:132], v[16:17]
	v_add_f64 v[18:19], v[129:130], v[121:122]
	v_mul_f64 v[121:122], v[101:102], s[28:29]
	v_fma_f64 v[129:130], v[93:94], s[8:9], v[135:136]
	v_mul_f64 v[131:132], v[115:116], s[26:27]
	v_fma_f64 v[139:140], v[75:76], s[36:37], v[127:128]
	v_add_f64 v[137:138], v[14:15], v[137:138]
	v_mul_f64 v[143:144], v[109:110], s[6:7]
	v_add_f64 v[16:17], v[125:126], v[16:17]
	v_mul_f64 v[125:126], v[107:108], s[44:45]
	v_fma_f64 v[141:142], v[95:96], s[14:15], v[121:122]
	v_add_f64 v[129:130], v[12:13], v[129:130]
	v_fma_f64 v[133:134], v[77:78], s[34:35], v[133:134]
	v_fma_f64 v[145:146], v[64:65], s[30:31], v[131:132]
	v_add_f64 v[137:138], v[139:140], v[137:138]
	v_mul_f64 v[139:140], v[89:90], s[22:23]
	v_mul_f64 v[147:148], v[103:104], s[12:13]
	v_fma_f64 v[149:150], v[83:84], s[26:27], v[125:126]
	v_fma_f64 v[127:128], v[75:76], s[28:29], v[127:128]
	v_add_f64 v[129:130], v[141:142], v[129:130]
	v_add_f64 v[133:134], v[14:15], v[133:134]
	v_fma_f64 v[141:142], v[50:51], s[40:41], v[143:144]
	v_add_f64 v[137:138], v[145:146], v[137:138]
	v_mul_f64 v[145:146], v[79:80], s[16:17]
	v_mul_f64 v[151:152], v[91:92], s[24:25]
	v_fma_f64 v[153:154], v[62:63], s[6:7], v[147:148]
	v_fma_f64 v[131:132], v[64:65], s[44:45], v[131:132]
	v_add_f64 v[129:130], v[149:150], v[129:130]
	v_add_f64 v[127:128], v[127:128], v[133:134]
	v_fma_f64 v[133:134], v[46:47], s[38:39], v[139:140]
	v_add_f64 v[137:138], v[141:142], v[137:138]
	v_fma_f64 v[135:136], v[93:94], s[8:9], -v[135:136]
	v_fma_f64 v[123:124], v[44:45], s[8:9], -v[123:124]
	v_mul_f64 v[141:142], v[87:88], s[42:43]
	v_fma_f64 v[149:150], v[48:49], s[22:23], v[151:152]
	v_add_f64 v[129:130], v[153:154], v[129:130]
	v_fma_f64 v[143:144], v[50:51], s[12:13], v[143:144]
	v_add_f64 v[127:128], v[131:132], v[127:128]
	;; [unrolled: 2-line block ×3, first 2 shown]
	v_fma_f64 v[121:122], v[95:96], s[14:15], -v[121:122]
	v_add_f64 v[135:136], v[12:13], v[135:136]
	v_fma_f64 v[137:138], v[44:45], s[16:17], v[141:142]
	v_add_f64 v[129:130], v[149:150], v[129:130]
	v_fma_f64 v[139:140], v[46:47], s[24:25], v[139:140]
	v_add_f64 v[127:128], v[143:144], v[127:128]
	v_add_f64 v[16:17], v[123:124], v[16:17]
	;; [unrolled: 1-line block ×3, first 2 shown]
	v_fma_f64 v[125:126], v[83:84], s[26:27], -v[125:126]
	v_mul_f64 v[131:132], v[119:120], s[6:7]
	v_add_f64 v[133:134], v[121:122], v[135:136]
	v_mul_f64 v[135:136], v[97:98], s[12:13]
	v_add_f64 v[121:122], v[137:138], v[129:130]
	v_fma_f64 v[129:130], v[20:21], s[42:43], v[145:146]
	v_add_f64 v[127:128], v[139:140], v[127:128]
	v_fma_f64 v[137:138], v[62:63], s[6:7], -v[147:148]
	v_mul_f64 v[139:140], v[117:118], s[22:23]
	v_fma_f64 v[143:144], v[77:78], s[40:41], v[131:132]
	v_add_f64 v[125:126], v[125:126], v[133:134]
	v_mul_f64 v[145:146], v[101:102], s[38:39]
	v_fma_f64 v[147:148], v[93:94], s[6:7], v[135:136]
	v_fma_f64 v[133:134], v[44:45], s[16:17], -v[141:142]
	v_fma_f64 v[141:142], v[48:49], s[22:23], -v[151:152]
	v_mul_f64 v[149:150], v[115:116], s[8:9]
	v_fma_f64 v[151:152], v[75:76], s[24:25], v[139:140]
	v_add_f64 v[143:144], v[14:15], v[143:144]
	v_add_f64 v[125:126], v[137:138], v[125:126]
	v_fma_f64 v[131:132], v[77:78], s[12:13], v[131:132]
	v_mul_f64 v[137:138], v[107:108], s[20:21]
	v_fma_f64 v[153:154], v[95:96], s[22:23], v[145:146]
	v_add_f64 v[147:148], v[12:13], v[147:148]
	v_mul_f64 v[155:156], v[109:110], s[26:27]
	v_fma_f64 v[157:158], v[64:65], s[34:35], v[149:150]
	v_add_f64 v[143:144], v[151:152], v[143:144]
	v_fma_f64 v[139:140], v[75:76], s[38:39], v[139:140]
	v_add_f64 v[131:132], v[14:15], v[131:132]
	v_mul_f64 v[151:152], v[103:104], s[44:45]
	v_fma_f64 v[159:160], v[83:84], s[8:9], v[137:138]
	v_add_f64 v[147:148], v[153:154], v[147:148]
	v_add_f64 v[113:114], v[14:15], v[113:114]
	v_add_f64 v[111:112], v[12:13], v[111:112]
	v_mul_f64 v[153:154], v[89:90], s[16:17]
	v_fma_f64 v[161:162], v[50:51], s[30:31], v[155:156]
	v_add_f64 v[143:144], v[157:158], v[143:144]
	v_fma_f64 v[149:150], v[64:65], s[20:21], v[149:150]
	v_add_f64 v[131:132], v[139:140], v[131:132]
	v_mul_f64 v[139:140], v[91:92], s[18:19]
	v_fma_f64 v[157:158], v[62:63], s[26:27], v[151:152]
	v_add_f64 v[147:148], v[159:160], v[147:148]
	v_add_f64 v[99:100], v[113:114], v[99:100]
	;; [unrolled: 10-line block ×3, first 2 shown]
	v_add_f64 v[81:82], v[99:100], v[81:82]
	v_add_f64 v[85:86], v[105:106], v[85:86]
	;; [unrolled: 1-line block ×3, first 2 shown]
	v_fma_f64 v[129:130], v[20:21], s[28:29], v[159:160]
	v_fma_f64 v[141:142], v[46:47], s[18:19], v[153:154]
	v_add_f64 v[131:132], v[155:156], v[131:132]
	v_add_f64 v[143:144], v[163:164], v[143:144]
	v_fma_f64 v[153:154], v[44:45], s[14:15], v[149:150]
	v_add_f64 v[147:148], v[161:162], v[147:148]
	v_add_f64 v[125:126], v[133:134], v[125:126]
	v_mul_f64 v[133:134], v[119:120], s[16:17]
	v_add_f64 v[81:82], v[81:82], v[66:67]
	v_add_f64 v[73:74], v[85:86], v[73:74]
	v_fma_f64 v[155:156], v[20:21], s[36:37], v[159:160]
	v_fma_f64 v[135:136], v[93:94], s[6:7], -v[135:136]
	v_add_f64 v[141:142], v[141:142], v[131:132]
	v_add_f64 v[131:132], v[129:130], v[143:144]
	v_mul_f64 v[143:144], v[97:98], s[18:19]
	v_add_f64 v[129:130], v[153:154], v[147:148]
	v_mul_f64 v[147:148], v[117:118], s[8:9]
	v_fma_f64 v[153:154], v[77:78], s[42:43], v[133:134]
	v_fma_f64 v[133:134], v[77:78], s[18:19], v[133:134]
	v_add_f64 v[58:59], v[81:82], v[58:59]
	v_add_f64 v[60:61], v[73:74], v[60:61]
	v_fma_f64 v[145:146], v[95:96], s[22:23], -v[145:146]
	v_add_f64 v[157:158], v[12:13], v[135:136]
	v_add_f64 v[135:136], v[155:156], v[141:142]
	v_mul_f64 v[141:142], v[101:102], s[34:35]
	v_fma_f64 v[155:156], v[93:94], s[16:17], v[143:144]
	v_mul_f64 v[159:160], v[115:116], s[22:23]
	v_fma_f64 v[161:162], v[75:76], s[20:21], v[147:148]
	v_add_f64 v[153:154], v[14:15], v[153:154]
	v_mul_f64 v[165:166], v[109:110], s[14:15]
	v_fma_f64 v[147:148], v[75:76], s[34:35], v[147:148]
	v_add_f64 v[133:134], v[14:15], v[133:134]
	v_fma_f64 v[143:144], v[93:94], s[16:17], -v[143:144]
	v_mul_f64 v[119:120], v[119:120], s[26:27]
	v_mul_f64 v[73:74], v[97:98], s[30:31]
	v_add_f64 v[54:55], v[58:59], v[54:55]
	v_add_f64 v[56:57], v[60:61], v[56:57]
	v_fma_f64 v[137:138], v[83:84], s[8:9], -v[137:138]
	v_add_f64 v[145:146], v[145:146], v[157:158]
	v_mul_f64 v[157:158], v[107:108], s[38:39]
	v_fma_f64 v[163:164], v[95:96], s[8:9], v[141:142]
	v_add_f64 v[155:156], v[12:13], v[155:156]
	v_fma_f64 v[167:168], v[64:65], s[24:25], v[159:160]
	v_add_f64 v[153:154], v[161:162], v[153:154]
	v_fma_f64 v[169:170], v[50:51], s[36:37], v[165:166]
	v_fma_f64 v[159:160], v[64:65], s[38:39], v[159:160]
	v_add_f64 v[133:134], v[147:148], v[133:134]
	v_fma_f64 v[141:142], v[95:96], s[8:9], -v[141:142]
	v_add_f64 v[143:144], v[12:13], v[143:144]
	v_fma_f64 v[147:148], v[50:51], s[28:29], v[165:166]
	v_mul_f64 v[117:118], v[117:118], s[16:17]
	v_fma_f64 v[165:166], v[77:78], s[44:45], v[119:120]
	v_fma_f64 v[77:78], v[77:78], s[30:31], v[119:120]
	v_mul_f64 v[97:98], v[101:102], s[18:19]
	v_fma_f64 v[58:59], v[93:94], s[26:27], -v[73:74]
	v_fma_f64 v[73:74], v[93:94], s[26:27], v[73:74]
	v_add_f64 v[42:43], v[54:55], v[42:43]
	v_add_f64 v[52:53], v[56:57], v[52:53]
	v_fma_f64 v[151:152], v[62:63], s[26:27], -v[151:152]
	v_add_f64 v[137:138], v[137:138], v[145:146]
	v_mul_f64 v[145:146], v[103:104], s[28:29]
	v_fma_f64 v[161:162], v[83:84], s[22:23], v[157:158]
	v_add_f64 v[155:156], v[163:164], v[155:156]
	v_mul_f64 v[163:164], v[89:90], s[6:7]
	v_add_f64 v[153:154], v[167:168], v[153:154]
	v_add_f64 v[133:134], v[159:160], v[133:134]
	v_fma_f64 v[157:158], v[83:84], s[22:23], -v[157:158]
	v_add_f64 v[141:142], v[141:142], v[143:144]
	v_mul_f64 v[115:116], v[115:116], s[6:7]
	v_fma_f64 v[143:144], v[75:76], s[42:43], v[117:118]
	v_add_f64 v[159:160], v[14:15], v[165:166]
	v_mul_f64 v[60:61], v[107:108], s[12:13]
	v_fma_f64 v[75:76], v[75:76], s[18:19], v[117:118]
	v_add_f64 v[14:15], v[14:15], v[77:78]
	v_fma_f64 v[77:78], v[95:96], s[16:17], -v[97:98]
	v_add_f64 v[54:55], v[12:13], v[58:59]
	v_fma_f64 v[56:57], v[95:96], s[16:17], v[97:98]
	v_add_f64 v[12:13], v[12:13], v[73:74]
	v_add_f64 v[38:39], v[42:43], v[38:39]
	;; [unrolled: 1-line block ×3, first 2 shown]
	v_fma_f64 v[139:140], v[48:49], s[16:17], -v[139:140]
	v_add_f64 v[137:138], v[151:152], v[137:138]
	v_mul_f64 v[151:152], v[91:92], s[40:41]
	v_add_f64 v[155:156], v[161:162], v[155:156]
	v_mul_f64 v[161:162], v[79:80], s[26:27]
	v_fma_f64 v[171:172], v[46:47], s[12:13], v[163:164]
	v_add_f64 v[153:154], v[169:170], v[153:154]
	v_mul_f64 v[169:170], v[87:88], s[44:45]
	v_fma_f64 v[163:164], v[46:47], s[40:41], v[163:164]
	v_add_f64 v[111:112], v[147:148], v[133:134]
	v_fma_f64 v[113:114], v[62:63], s[14:15], -v[145:146]
	v_add_f64 v[133:134], v[157:158], v[141:142]
	v_mul_f64 v[109:110], v[109:110], s[8:9]
	v_fma_f64 v[141:142], v[64:65], s[40:41], v[115:116]
	v_mul_f64 v[81:82], v[87:88], s[38:39]
	v_mul_f64 v[87:88], v[91:92], s[36:37]
	;; [unrolled: 1-line block ×3, first 2 shown]
	v_fma_f64 v[58:59], v[64:65], s[12:13], v[115:116]
	v_add_f64 v[14:15], v[75:76], v[14:15]
	v_fma_f64 v[64:65], v[83:84], s[6:7], -v[60:61]
	v_add_f64 v[42:43], v[77:78], v[54:55]
	v_add_f64 v[143:144], v[143:144], v[159:160]
	v_fma_f64 v[52:53], v[83:84], s[6:7], v[60:61]
	v_add_f64 v[12:13], v[56:57], v[12:13]
	v_add_f64 v[34:35], v[38:39], v[34:35]
	;; [unrolled: 1-line block ×4, first 2 shown]
	v_fma_f64 v[139:140], v[20:21], s[30:31], v[161:162]
	v_fma_f64 v[161:162], v[20:21], s[44:45], v[161:162]
	v_add_f64 v[99:100], v[163:164], v[111:112]
	v_fma_f64 v[105:106], v[48:49], s[6:7], -v[151:152]
	v_add_f64 v[111:112], v[113:114], v[133:134]
	v_mul_f64 v[89:90], v[89:90], s[14:15]
	v_fma_f64 v[113:114], v[50:51], s[20:21], v[109:110]
	v_fma_f64 v[50:51], v[50:51], s[34:35], v[109:110]
	v_add_f64 v[14:15], v[58:59], v[14:15]
	v_fma_f64 v[54:55], v[62:63], s[8:9], -v[91:92]
	v_add_f64 v[38:39], v[64:65], v[42:43]
	v_fma_f64 v[167:168], v[62:63], s[14:15], v[145:146]
	v_add_f64 v[133:134], v[141:142], v[143:144]
	v_fma_f64 v[40:41], v[62:63], s[8:9], v[91:92]
	v_add_f64 v[12:13], v[52:53], v[12:13]
	v_add_f64 v[28:29], v[34:35], v[28:29]
	v_add_f64 v[32:33], v[36:37], v[32:33]
	v_add_f64 v[66:67], v[161:162], v[99:100]
	v_add_f64 v[99:100], v[105:106], v[111:112]
	v_mul_f64 v[79:80], v[79:80], s[22:23]
	v_fma_f64 v[105:106], v[46:47], s[28:29], v[89:90]
	v_fma_f64 v[42:43], v[46:47], s[36:37], v[89:90]
	v_add_f64 v[14:15], v[50:51], v[14:15]
	v_fma_f64 v[46:47], v[48:49], s[14:15], -v[87:88]
	v_add_f64 v[34:35], v[54:55], v[38:39]
	v_fma_f64 v[173:174], v[48:49], s[6:7], v[151:152]
	v_add_f64 v[155:156], v[167:168], v[155:156]
	v_add_f64 v[111:112], v[113:114], v[133:134]
	v_fma_f64 v[36:37], v[48:49], s[14:15], v[87:88]
	v_add_f64 v[12:13], v[40:41], v[12:13]
	v_add_f64 v[24:25], v[28:29], v[24:25]
	;; [unrolled: 1-line block ×3, first 2 shown]
	v_fma_f64 v[38:39], v[20:21], s[38:39], v[79:80]
	v_add_f64 v[14:15], v[42:43], v[14:15]
	v_fma_f64 v[40:41], v[44:45], s[22:23], -v[81:82]
	v_add_f64 v[30:31], v[46:47], v[34:35]
	v_fma_f64 v[85:86], v[44:45], s[26:27], -v[169:170]
	v_fma_f64 v[149:150], v[44:45], s[14:15], -v[149:150]
	v_add_f64 v[153:154], v[171:172], v[153:154]
	v_fma_f64 v[167:168], v[44:45], s[26:27], v[169:170]
	v_add_f64 v[155:156], v[173:174], v[155:156]
	v_fma_f64 v[20:21], v[20:21], s[24:25], v[79:80]
	;; [unrolled: 2-line block ×3, first 2 shown]
	v_add_f64 v[36:37], v[36:37], v[12:13]
	v_add_f64 v[24:25], v[24:25], v[26:27]
	;; [unrolled: 1-line block ×11, first 2 shown]
	ds_write_b128 v207, v[22:25]
	ds_write_b128 v207, v[12:15] offset:2080
	ds_write_b128 v207, v[64:67] offset:4160
	;; [unrolled: 1-line block ×12, first 2 shown]
.LBB0_25:
	s_or_b64 exec, exec, s[4:5]
	s_waitcnt lgkmcnt(0)
	s_barrier
	s_and_saveexec_b64 s[4:5], s[0:1]
	s_cbranch_execz .LBB0_27
; %bb.26:
	v_mul_lo_u32 v0, s3, v70
	v_mul_lo_u32 v1, s2, v71
	v_mad_u64_u32 v[4:5], s[0:1], s2, v70, 0
	v_mov_b32_e32 v6, s11
	v_lshl_add_u32 v10, v72, 4, 0
	v_add3_u32 v5, v5, v1, v0
	v_lshlrev_b64 v[4:5], 4, v[4:5]
	v_mov_b32_e32 v73, 0
	v_add_co_u32_e32 v7, vcc, s10, v4
	v_addc_co_u32_e32 v6, vcc, v6, v5, vcc
	v_lshlrev_b64 v[4:5], 4, v[68:69]
	ds_read_b128 v[0:3], v10
	v_add_co_u32_e32 v11, vcc, v7, v4
	v_addc_co_u32_e32 v12, vcc, v6, v5, vcc
	v_lshlrev_b64 v[4:5], 4, v[72:73]
	v_add_co_u32_e32 v8, vcc, v11, v4
	v_addc_co_u32_e32 v9, vcc, v12, v5, vcc
	ds_read_b128 v[4:7], v10 offset:2704
	s_waitcnt lgkmcnt(1)
	global_store_dwordx4 v[8:9], v[0:3], off
	s_nop 0
	v_add_u32_e32 v0, 0xa9, v72
	v_mov_b32_e32 v1, v73
	v_lshlrev_b64 v[0:1], 4, v[0:1]
	v_add_co_u32_e32 v0, vcc, v11, v0
	v_addc_co_u32_e32 v1, vcc, v12, v1, vcc
	s_waitcnt lgkmcnt(0)
	global_store_dwordx4 v[0:1], v[4:7], off
	ds_read_b128 v[0:3], v10 offset:5408
	v_add_u32_e32 v4, 0x152, v72
	v_mov_b32_e32 v5, v73
	v_lshlrev_b64 v[4:5], 4, v[4:5]
	v_add_co_u32_e32 v8, vcc, v11, v4
	v_addc_co_u32_e32 v9, vcc, v12, v5, vcc
	ds_read_b128 v[4:7], v10 offset:8112
	s_waitcnt lgkmcnt(1)
	global_store_dwordx4 v[8:9], v[0:3], off
	s_nop 0
	v_add_u32_e32 v0, 0x1fb, v72
	v_mov_b32_e32 v1, v73
	v_lshlrev_b64 v[0:1], 4, v[0:1]
	v_add_co_u32_e32 v0, vcc, v11, v0
	v_addc_co_u32_e32 v1, vcc, v12, v1, vcc
	s_waitcnt lgkmcnt(0)
	global_store_dwordx4 v[0:1], v[4:7], off
	ds_read_b128 v[0:3], v10 offset:10816
	v_add_u32_e32 v4, 0x2a4, v72
	v_mov_b32_e32 v5, v73
	;; [unrolled: 17-line block ×4, first 2 shown]
	v_lshlrev_b64 v[4:5], 4, v[4:5]
	v_add_u32_e32 v72, 0x5f1, v72
	v_add_co_u32_e32 v8, vcc, v11, v4
	v_addc_co_u32_e32 v9, vcc, v12, v5, vcc
	ds_read_b128 v[4:7], v10 offset:24336
	s_waitcnt lgkmcnt(1)
	global_store_dwordx4 v[8:9], v[0:3], off
	s_nop 0
	v_lshlrev_b64 v[0:1], 4, v[72:73]
	v_add_co_u32_e32 v0, vcc, v11, v0
	v_addc_co_u32_e32 v1, vcc, v12, v1, vcc
	s_waitcnt lgkmcnt(0)
	global_store_dwordx4 v[0:1], v[4:7], off
.LBB0_27:
	s_endpgm
	.section	.rodata,"a",@progbits
	.p2align	6, 0x0
	.amdhsa_kernel fft_rtc_fwd_len1690_factors_13_10_13_wgs_169_tpt_169_dp_op_CI_CI_unitstride_sbrr_C2R_dirReg
		.amdhsa_group_segment_fixed_size 0
		.amdhsa_private_segment_fixed_size 12
		.amdhsa_kernarg_size 104
		.amdhsa_user_sgpr_count 6
		.amdhsa_user_sgpr_private_segment_buffer 1
		.amdhsa_user_sgpr_dispatch_ptr 0
		.amdhsa_user_sgpr_queue_ptr 0
		.amdhsa_user_sgpr_kernarg_segment_ptr 1
		.amdhsa_user_sgpr_dispatch_id 0
		.amdhsa_user_sgpr_flat_scratch_init 0
		.amdhsa_user_sgpr_private_segment_size 0
		.amdhsa_uses_dynamic_stack 0
		.amdhsa_system_sgpr_private_segment_wavefront_offset 1
		.amdhsa_system_sgpr_workgroup_id_x 1
		.amdhsa_system_sgpr_workgroup_id_y 0
		.amdhsa_system_sgpr_workgroup_id_z 0
		.amdhsa_system_sgpr_workgroup_info 0
		.amdhsa_system_vgpr_workitem_id 0
		.amdhsa_next_free_vgpr 256
		.amdhsa_next_free_sgpr 52
		.amdhsa_reserve_vcc 1
		.amdhsa_reserve_flat_scratch 0
		.amdhsa_float_round_mode_32 0
		.amdhsa_float_round_mode_16_64 0
		.amdhsa_float_denorm_mode_32 3
		.amdhsa_float_denorm_mode_16_64 3
		.amdhsa_dx10_clamp 1
		.amdhsa_ieee_mode 1
		.amdhsa_fp16_overflow 0
		.amdhsa_exception_fp_ieee_invalid_op 0
		.amdhsa_exception_fp_denorm_src 0
		.amdhsa_exception_fp_ieee_div_zero 0
		.amdhsa_exception_fp_ieee_overflow 0
		.amdhsa_exception_fp_ieee_underflow 0
		.amdhsa_exception_fp_ieee_inexact 0
		.amdhsa_exception_int_div_zero 0
	.end_amdhsa_kernel
	.text
.Lfunc_end0:
	.size	fft_rtc_fwd_len1690_factors_13_10_13_wgs_169_tpt_169_dp_op_CI_CI_unitstride_sbrr_C2R_dirReg, .Lfunc_end0-fft_rtc_fwd_len1690_factors_13_10_13_wgs_169_tpt_169_dp_op_CI_CI_unitstride_sbrr_C2R_dirReg
                                        ; -- End function
	.section	.AMDGPU.csdata,"",@progbits
; Kernel info:
; codeLenInByte = 13524
; NumSgprs: 56
; NumVgprs: 256
; ScratchSize: 12
; MemoryBound: 0
; FloatMode: 240
; IeeeMode: 1
; LDSByteSize: 0 bytes/workgroup (compile time only)
; SGPRBlocks: 6
; VGPRBlocks: 63
; NumSGPRsForWavesPerEU: 56
; NumVGPRsForWavesPerEU: 256
; Occupancy: 1
; WaveLimiterHint : 1
; COMPUTE_PGM_RSRC2:SCRATCH_EN: 1
; COMPUTE_PGM_RSRC2:USER_SGPR: 6
; COMPUTE_PGM_RSRC2:TRAP_HANDLER: 0
; COMPUTE_PGM_RSRC2:TGID_X_EN: 1
; COMPUTE_PGM_RSRC2:TGID_Y_EN: 0
; COMPUTE_PGM_RSRC2:TGID_Z_EN: 0
; COMPUTE_PGM_RSRC2:TIDIG_COMP_CNT: 0
	.type	__hip_cuid_b78dec49b308c430,@object ; @__hip_cuid_b78dec49b308c430
	.section	.bss,"aw",@nobits
	.globl	__hip_cuid_b78dec49b308c430
__hip_cuid_b78dec49b308c430:
	.byte	0                               ; 0x0
	.size	__hip_cuid_b78dec49b308c430, 1

	.ident	"AMD clang version 19.0.0git (https://github.com/RadeonOpenCompute/llvm-project roc-6.4.0 25133 c7fe45cf4b819c5991fe208aaa96edf142730f1d)"
	.section	".note.GNU-stack","",@progbits
	.addrsig
	.addrsig_sym __hip_cuid_b78dec49b308c430
	.amdgpu_metadata
---
amdhsa.kernels:
  - .args:
      - .actual_access:  read_only
        .address_space:  global
        .offset:         0
        .size:           8
        .value_kind:     global_buffer
      - .offset:         8
        .size:           8
        .value_kind:     by_value
      - .actual_access:  read_only
        .address_space:  global
        .offset:         16
        .size:           8
        .value_kind:     global_buffer
      - .actual_access:  read_only
        .address_space:  global
        .offset:         24
        .size:           8
        .value_kind:     global_buffer
      - .actual_access:  read_only
        .address_space:  global
        .offset:         32
        .size:           8
        .value_kind:     global_buffer
      - .offset:         40
        .size:           8
        .value_kind:     by_value
      - .actual_access:  read_only
        .address_space:  global
        .offset:         48
        .size:           8
        .value_kind:     global_buffer
      - .actual_access:  read_only
        .address_space:  global
        .offset:         56
        .size:           8
        .value_kind:     global_buffer
      - .offset:         64
        .size:           4
        .value_kind:     by_value
      - .actual_access:  read_only
        .address_space:  global
        .offset:         72
        .size:           8
        .value_kind:     global_buffer
      - .actual_access:  read_only
        .address_space:  global
        .offset:         80
        .size:           8
        .value_kind:     global_buffer
      - .actual_access:  read_only
        .address_space:  global
        .offset:         88
        .size:           8
        .value_kind:     global_buffer
      - .actual_access:  write_only
        .address_space:  global
        .offset:         96
        .size:           8
        .value_kind:     global_buffer
    .group_segment_fixed_size: 0
    .kernarg_segment_align: 8
    .kernarg_segment_size: 104
    .language:       OpenCL C
    .language_version:
      - 2
      - 0
    .max_flat_workgroup_size: 169
    .name:           fft_rtc_fwd_len1690_factors_13_10_13_wgs_169_tpt_169_dp_op_CI_CI_unitstride_sbrr_C2R_dirReg
    .private_segment_fixed_size: 12
    .sgpr_count:     56
    .sgpr_spill_count: 0
    .symbol:         fft_rtc_fwd_len1690_factors_13_10_13_wgs_169_tpt_169_dp_op_CI_CI_unitstride_sbrr_C2R_dirReg.kd
    .uniform_work_group_size: 1
    .uses_dynamic_stack: false
    .vgpr_count:     256
    .vgpr_spill_count: 2
    .wavefront_size: 64
amdhsa.target:   amdgcn-amd-amdhsa--gfx906
amdhsa.version:
  - 1
  - 2
...

	.end_amdgpu_metadata
